;; amdgpu-corpus repo=ROCm/rocFFT kind=compiled arch=gfx906 opt=O3
	.text
	.amdgcn_target "amdgcn-amd-amdhsa--gfx906"
	.amdhsa_code_object_version 6
	.protected	fft_rtc_fwd_len224_factors_4_7_2_2_2_wgs_196_tpt_14_dim3_sp_ip_CI_sbcc_twdbase8_3step_dirReg ; -- Begin function fft_rtc_fwd_len224_factors_4_7_2_2_2_wgs_196_tpt_14_dim3_sp_ip_CI_sbcc_twdbase8_3step_dirReg
	.globl	fft_rtc_fwd_len224_factors_4_7_2_2_2_wgs_196_tpt_14_dim3_sp_ip_CI_sbcc_twdbase8_3step_dirReg
	.p2align	8
	.type	fft_rtc_fwd_len224_factors_4_7_2_2_2_wgs_196_tpt_14_dim3_sp_ip_CI_sbcc_twdbase8_3step_dirReg,@function
fft_rtc_fwd_len224_factors_4_7_2_2_2_wgs_196_tpt_14_dim3_sp_ip_CI_sbcc_twdbase8_3step_dirReg: ; @fft_rtc_fwd_len224_factors_4_7_2_2_2_wgs_196_tpt_14_dim3_sp_ip_CI_sbcc_twdbase8_3step_dirReg
; %bb.0:
	s_load_dwordx4 s[0:3], s[4:5], 0x10
	s_mov_b32 s7, 0
	s_waitcnt lgkmcnt(0)
	s_load_dwordx2 s[20:21], s[0:1], 0x8
	s_waitcnt lgkmcnt(0)
	s_add_u32 s8, s20, -1
	s_addc_u32 s9, s21, -1
	s_add_u32 s10, 0, 0x49240800
	s_addc_u32 s11, 0, 50
	s_mul_hi_u32 s13, s10, -14
	s_add_i32 s11, s11, 0x12492460
	s_sub_i32 s13, s13, s10
	s_mul_i32 s16, s11, -14
	s_mul_i32 s12, s10, -14
	s_add_i32 s13, s13, s16
	s_mul_hi_u32 s14, s11, s12
	s_mul_i32 s15, s11, s12
	s_mul_i32 s17, s10, s13
	s_mul_hi_u32 s12, s10, s12
	s_mul_hi_u32 s16, s10, s13
	s_add_u32 s12, s12, s17
	s_addc_u32 s16, 0, s16
	s_add_u32 s12, s12, s15
	s_mul_hi_u32 s17, s11, s13
	s_addc_u32 s12, s16, s14
	s_addc_u32 s14, s17, 0
	s_mul_i32 s13, s11, s13
	s_add_u32 s12, s12, s13
	v_mov_b32_e32 v1, s12
	s_addc_u32 s13, 0, s14
	v_add_co_u32_e32 v1, vcc, s10, v1
	s_cmp_lg_u64 vcc, 0
	s_addc_u32 s10, s11, s13
	v_readfirstlane_b32 s13, v1
	s_mul_i32 s12, s8, s10
	s_mul_hi_u32 s14, s8, s13
	s_mul_hi_u32 s11, s8, s10
	s_add_u32 s12, s14, s12
	s_addc_u32 s11, 0, s11
	s_mul_hi_u32 s15, s9, s13
	s_mul_i32 s13, s9, s13
	s_add_u32 s12, s12, s13
	s_mul_hi_u32 s14, s9, s10
	s_addc_u32 s11, s11, s15
	s_addc_u32 s12, s14, 0
	s_mul_i32 s10, s9, s10
	s_add_u32 s10, s11, s10
	s_addc_u32 s11, 0, s12
	s_add_u32 s12, s10, 1
	s_addc_u32 s13, s11, 0
	s_add_u32 s14, s10, 2
	s_mul_i32 s16, s11, 14
	s_mul_hi_u32 s17, s10, 14
	s_addc_u32 s15, s11, 0
	s_add_i32 s17, s17, s16
	s_mul_i32 s16, s10, 14
	v_mov_b32_e32 v1, s16
	v_sub_co_u32_e32 v1, vcc, s8, v1
	s_cmp_lg_u64 vcc, 0
	s_subb_u32 s8, s9, s17
	v_subrev_co_u32_e32 v2, vcc, 14, v1
	s_cmp_lg_u64 vcc, 0
	s_subb_u32 s9, s8, 0
	v_readfirstlane_b32 s16, v2
	s_cmp_gt_u32 s16, 13
	s_cselect_b32 s16, -1, 0
	s_cmp_eq_u32 s9, 0
	s_cselect_b32 s9, s16, -1
	s_cmp_lg_u32 s9, 0
	s_cselect_b32 s9, s14, s12
	s_cselect_b32 s12, s15, s13
	v_readfirstlane_b32 s13, v1
	s_cmp_gt_u32 s13, 13
	s_cselect_b32 s13, -1, 0
	s_cmp_eq_u32 s8, 0
	s_cselect_b32 s8, s13, -1
	s_cmp_lg_u32 s8, 0
	s_cselect_b32 s8, s9, s10
	s_cselect_b32 s11, s12, s11
	s_add_u32 s8, s8, 1
	s_addc_u32 s9, s11, 0
	v_mov_b32_e32 v1, s8
	v_mov_b32_e32 v2, s9
	v_cmp_lt_u64_e32 vcc, s[6:7], v[1:2]
	s_mov_b64 s[16:17], 0
	s_cbranch_vccnz .LBB0_2
; %bb.1:
	v_cvt_f32_u32_e32 v1, s8
	s_sub_i32 s10, 0, s8
	s_mov_b32 s17, s7
	v_rcp_iflag_f32_e32 v1, v1
	v_mul_f32_e32 v1, 0x4f7ffffe, v1
	v_cvt_u32_f32_e32 v1, v1
	v_readfirstlane_b32 s11, v1
	s_mul_i32 s10, s10, s11
	s_mul_hi_u32 s10, s11, s10
	s_add_i32 s11, s11, s10
	s_mul_hi_u32 s10, s6, s11
	s_mul_i32 s12, s10, s8
	s_sub_i32 s12, s6, s12
	s_add_i32 s11, s10, 1
	s_sub_i32 s13, s12, s8
	s_cmp_ge_u32 s12, s8
	s_cselect_b32 s10, s11, s10
	s_cselect_b32 s12, s13, s12
	s_add_i32 s11, s10, 1
	s_cmp_ge_u32 s12, s8
	s_cselect_b32 s16, s11, s10
.LBB0_2:
	s_load_dwordx2 s[10:11], s[0:1], 0x10
	s_load_dwordx2 s[12:13], s[2:3], 0x8
	s_mov_b64 s[0:1], s[16:17]
	s_waitcnt lgkmcnt(0)
	v_mov_b32_e32 v1, s10
	v_mov_b32_e32 v2, s11
	v_cmp_lt_u64_e32 vcc, s[16:17], v[1:2]
	s_cbranch_vccnz .LBB0_4
; %bb.3:
	v_cvt_f32_u32_e32 v1, s10
	s_sub_i32 s0, 0, s10
	v_rcp_iflag_f32_e32 v1, v1
	v_mul_f32_e32 v1, 0x4f7ffffe, v1
	v_cvt_u32_f32_e32 v1, v1
	v_readfirstlane_b32 s1, v1
	s_mul_i32 s0, s0, s1
	s_mul_hi_u32 s0, s1, s0
	s_add_i32 s1, s1, s0
	s_mul_hi_u32 s0, s16, s1
	s_mul_i32 s0, s0, s10
	s_sub_i32 s0, s16, s0
	s_sub_i32 s1, s0, s10
	s_cmp_ge_u32 s0, s10
	s_cselect_b32 s0, s1, s0
	s_sub_i32 s1, s0, s10
	s_cmp_ge_u32 s0, s10
	s_cselect_b32 s0, s1, s0
.LBB0_4:
	s_mul_i32 s1, s10, s9
	s_mul_hi_u32 s17, s10, s8
	s_add_i32 s1, s17, s1
	s_mul_i32 s11, s11, s8
	s_mul_i32 s24, s10, s8
	s_load_dwordx2 s[14:15], s[4:5], 0x50
	s_add_i32 s25, s1, s11
	s_load_dwordx2 s[10:11], s[2:3], 0x0
	s_load_dwordx2 s[18:19], s[2:3], 0x10
	v_mov_b32_e32 v1, s24
	v_mov_b32_e32 v2, s25
	v_cmp_lt_u64_e32 vcc, s[6:7], v[1:2]
	s_mov_b64 s[22:23], 0
	s_cbranch_vccnz .LBB0_6
; %bb.5:
	v_cvt_f32_u32_e32 v1, s24
	s_sub_i32 s1, 0, s24
	v_rcp_iflag_f32_e32 v1, v1
	v_mul_f32_e32 v1, 0x4f7ffffe, v1
	v_cvt_u32_f32_e32 v1, v1
	v_readfirstlane_b32 s7, v1
	s_mul_i32 s1, s1, s7
	s_mul_hi_u32 s1, s7, s1
	s_add_i32 s7, s7, s1
	s_mul_hi_u32 s1, s6, s7
	s_mul_i32 s17, s1, s24
	s_sub_i32 s17, s6, s17
	s_add_i32 s7, s1, 1
	s_sub_i32 s22, s17, s24
	s_cmp_ge_u32 s17, s24
	s_cselect_b32 s1, s7, s1
	s_cselect_b32 s17, s22, s17
	s_add_i32 s7, s1, 1
	s_cmp_ge_u32 s17, s24
	s_cselect_b32 s22, s7, s1
.LBB0_6:
	s_mul_i32 s1, s16, s9
	s_mul_hi_u32 s7, s16, s8
	s_add_i32 s7, s7, s1
	s_mul_i32 s1, s16, s8
	s_sub_u32 s1, s6, s1
	s_subb_u32 s6, 0, s7
	s_mul_i32 s6, s6, 14
	s_mul_hi_u32 s7, s1, 14
	s_load_dwordx2 s[2:3], s[2:3], 0x18
	s_add_i32 s6, s7, s6
	s_mul_i32 s1, s1, 14
	s_mul_i32 s7, s12, s6
	s_mul_hi_u32 s8, s12, s1
	s_add_i32 s7, s8, s7
	s_mul_i32 s8, s13, s1
	s_waitcnt lgkmcnt(0)
	s_mul_i32 s9, s19, s0
	s_mul_hi_u32 s16, s18, s0
	s_add_i32 s7, s7, s8
	s_mul_i32 s8, s12, s1
	s_add_i32 s16, s16, s9
	s_mul_i32 s0, s18, s0
	v_mul_u32_u24_e32 v1, 0x124a, v0
	s_add_u32 s0, s0, s8
	s_mul_i32 s3, s3, s22
	s_mul_hi_u32 s8, s2, s22
	v_lshrrev_b32_e32 v60, 16, v1
	s_addc_u32 s7, s16, s7
	s_add_i32 s8, s8, s3
	s_mul_i32 s2, s2, s22
	v_mul_lo_u16_e32 v1, 14, v60
	s_add_u32 s16, s2, s0
	v_sub_u16_e32 v61, v0, v1
	s_addc_u32 s17, s8, s7
	v_mov_b32_e32 v1, s6
	v_add_co_u32_e32 v49, vcc, s1, v61
	v_addc_co_u32_e32 v50, vcc, 0, v1, vcc
	s_add_u32 s0, s1, 14
	v_mov_b32_e32 v1, s20
	s_addc_u32 s1, s6, 0
	v_mov_b32_e32 v2, s21
	v_cmp_gt_u64_e32 vcc, s[0:1], v[1:2]
	v_cmp_le_u64_e64 s[0:1], s[0:1], v[1:2]
	s_cbranch_vccz .LBB0_12
; %bb.7:
	v_cmp_le_u64_e32 vcc, s[20:21], v[49:50]
                                        ; implicit-def: $vgpr51
                                        ; implicit-def: $vgpr53
                                        ; implicit-def: $vgpr62
	s_and_saveexec_b64 s[2:3], vcc
	s_xor_b64 s[2:3], exec, s[2:3]
; %bb.8:
	v_add_u32_e32 v51, 14, v60
	v_add_u32_e32 v53, 28, v60
	;; [unrolled: 1-line block ×3, first 2 shown]
; %bb.9:
	s_or_saveexec_b64 s[2:3], s[2:3]
                                        ; implicit-def: $vgpr1
                                        ; implicit-def: $vgpr27
                                        ; implicit-def: $vgpr31
                                        ; implicit-def: $vgpr25
                                        ; implicit-def: $vgpr29
                                        ; implicit-def: $vgpr19
                                        ; implicit-def: $vgpr23
                                        ; implicit-def: $vgpr17
                                        ; implicit-def: $vgpr21
                                        ; implicit-def: $vgpr9
                                        ; implicit-def: $vgpr15
                                        ; implicit-def: $vgpr11
                                        ; implicit-def: $vgpr13
                                        ; implicit-def: $vgpr7
                                        ; implicit-def: $vgpr3
                                        ; implicit-def: $vgpr5
	s_xor_b64 exec, exec, s[2:3]
	s_cbranch_execz .LBB0_11
; %bb.10:
	v_mad_u64_u32 v[1:2], s[6:7], s12, v61, 0
	v_mad_u64_u32 v[3:4], s[6:7], s10, v60, 0
	v_add_u32_e32 v8, 56, v60
	v_add_u32_e32 v51, 14, v60
	v_mad_u64_u32 v[5:6], s[6:7], s13, v61, v[2:3]
	v_mov_b32_e32 v2, v4
	v_mad_u64_u32 v[6:7], s[6:7], s11, v60, v[2:3]
	s_lshl_b64 s[6:7], s[16:17], 3
	s_add_u32 s8, s14, s6
	s_addc_u32 s6, s15, s7
	v_mov_b32_e32 v2, v5
	v_mov_b32_e32 v4, v6
	;; [unrolled: 1-line block ×3, first 2 shown]
	v_mad_u64_u32 v[5:6], s[6:7], s10, v8, 0
	v_lshlrev_b64 v[1:2], 3, v[1:2]
	v_mad_u64_u32 v[15:16], s[6:7], s10, v51, 0
	v_add_co_u32_e32 v43, vcc, s8, v1
	v_addc_co_u32_e32 v44, vcc, v7, v2, vcc
	v_lshlrev_b64 v[1:2], 3, v[3:4]
	v_mov_b32_e32 v3, v6
	v_mad_u64_u32 v[3:4], s[6:7], s11, v8, v[3:4]
	v_add_u32_e32 v4, 0x70, v60
	v_mad_u64_u32 v[7:8], s[6:7], s10, v4, 0
	v_add_co_u32_e32 v9, vcc, v43, v1
	v_mov_b32_e32 v6, v3
	v_mov_b32_e32 v3, v8
	v_addc_co_u32_e32 v10, vcc, v44, v2, vcc
	v_lshlrev_b64 v[1:2], 3, v[5:6]
	v_mad_u64_u32 v[3:4], s[6:7], s11, v4, v[3:4]
	v_add_u32_e32 v6, 0xa8, v60
	v_mad_u64_u32 v[4:5], s[6:7], s10, v6, 0
	v_mov_b32_e32 v8, v3
	v_add_co_u32_e32 v11, vcc, v43, v1
	v_mov_b32_e32 v3, v5
	v_mad_u64_u32 v[5:6], s[6:7], s11, v6, v[3:4]
	v_addc_co_u32_e32 v12, vcc, v44, v2, vcc
	v_lshlrev_b64 v[1:2], 3, v[7:8]
	v_add_u32_e32 v22, 0x46, v60
	v_add_co_u32_e32 v13, vcc, v43, v1
	v_addc_co_u32_e32 v14, vcc, v44, v2, vcc
	v_lshlrev_b64 v[1:2], 3, v[4:5]
	v_add_u32_e32 v53, 28, v60
	v_add_co_u32_e32 v17, vcc, v43, v1
	v_mov_b32_e32 v1, v16
	v_mad_u64_u32 v[19:20], s[6:7], s11, v51, v[1:2]
	v_mad_u64_u32 v[20:21], s[6:7], s10, v22, 0
	v_addc_co_u32_e32 v18, vcc, v44, v2, vcc
	global_load_dwordx2 v[5:6], v[9:10], off
	global_load_dwordx2 v[3:4], v[11:12], off
	;; [unrolled: 1-line block ×4, first 2 shown]
	v_mov_b32_e32 v11, v21
	v_mad_u64_u32 v[11:12], s[6:7], s11, v22, v[11:12]
	v_add_u32_e32 v14, 0x7e, v60
	v_mad_u64_u32 v[12:13], s[6:7], s10, v14, 0
	v_mov_b32_e32 v16, v19
	v_mov_b32_e32 v21, v11
	;; [unrolled: 1-line block ×3, first 2 shown]
	v_lshlrev_b64 v[9:10], 3, v[15:16]
	v_mad_u64_u32 v[13:14], s[6:7], s11, v14, v[11:12]
	v_add_u32_e32 v16, 0xb6, v60
	v_mad_u64_u32 v[14:15], s[6:7], s10, v16, 0
	v_add_co_u32_e32 v17, vcc, v43, v9
	v_addc_co_u32_e32 v18, vcc, v44, v10, vcc
	v_lshlrev_b64 v[9:10], 3, v[20:21]
	v_mov_b32_e32 v11, v15
	v_add_co_u32_e32 v19, vcc, v43, v9
	v_addc_co_u32_e32 v20, vcc, v44, v10, vcc
	v_lshlrev_b64 v[9:10], 3, v[12:13]
	v_mad_u64_u32 v[11:12], s[6:7], s11, v16, v[11:12]
	v_mad_u64_u32 v[23:24], s[6:7], s10, v53, 0
	v_add_co_u32_e32 v21, vcc, v43, v9
	v_mov_b32_e32 v15, v11
	v_addc_co_u32_e32 v22, vcc, v44, v10, vcc
	v_lshlrev_b64 v[9:10], 3, v[14:15]
	v_add_u32_e32 v30, 0x54, v60
	v_add_co_u32_e32 v25, vcc, v43, v9
	v_mov_b32_e32 v9, v24
	v_mad_u64_u32 v[27:28], s[6:7], s11, v53, v[9:10]
	v_mad_u64_u32 v[28:29], s[6:7], s10, v30, 0
	v_addc_co_u32_e32 v26, vcc, v44, v10, vcc
	global_load_dwordx2 v[13:14], v[17:18], off
	global_load_dwordx2 v[11:12], v[19:20], off
	;; [unrolled: 1-line block ×4, first 2 shown]
	v_mov_b32_e32 v19, v29
	v_mad_u64_u32 v[19:20], s[6:7], s11, v30, v[19:20]
	v_add_u32_e32 v22, 0x8c, v60
	v_mad_u64_u32 v[20:21], s[6:7], s10, v22, 0
	v_mov_b32_e32 v24, v27
	v_mov_b32_e32 v29, v19
	;; [unrolled: 1-line block ×3, first 2 shown]
	v_lshlrev_b64 v[17:18], 3, v[23:24]
	v_mad_u64_u32 v[21:22], s[6:7], s11, v22, v[19:20]
	v_add_u32_e32 v24, 0xc4, v60
	v_mad_u64_u32 v[22:23], s[6:7], s10, v24, 0
	v_add_co_u32_e32 v25, vcc, v43, v17
	v_addc_co_u32_e32 v26, vcc, v44, v18, vcc
	v_lshlrev_b64 v[17:18], 3, v[28:29]
	v_mov_b32_e32 v19, v23
	v_add_co_u32_e32 v27, vcc, v43, v17
	v_addc_co_u32_e32 v28, vcc, v44, v18, vcc
	v_lshlrev_b64 v[17:18], 3, v[20:21]
	v_mad_u64_u32 v[19:20], s[6:7], s11, v24, v[19:20]
	v_add_u32_e32 v62, 42, v60
	v_mad_u64_u32 v[20:21], s[6:7], s10, v62, 0
	v_add_co_u32_e32 v29, vcc, v43, v17
	v_mov_b32_e32 v23, v19
	v_mov_b32_e32 v19, v21
	v_addc_co_u32_e32 v30, vcc, v44, v18, vcc
	v_lshlrev_b64 v[17:18], 3, v[22:23]
	v_mad_u64_u32 v[21:22], s[6:7], s11, v62, v[19:20]
	v_add_u32_e32 v24, 0x62, v60
	v_mad_u64_u32 v[22:23], s[6:7], s10, v24, 0
	v_add_co_u32_e32 v31, vcc, v43, v17
	v_mov_b32_e32 v19, v23
	v_addc_co_u32_e32 v32, vcc, v44, v18, vcc
	v_lshlrev_b64 v[17:18], 3, v[20:21]
	v_mad_u64_u32 v[19:20], s[6:7], s11, v24, v[19:20]
	v_add_u32_e32 v24, 0x9a, v60
	v_mad_u64_u32 v[20:21], s[6:7], s10, v24, 0
	v_add_co_u32_e32 v33, vcc, v43, v17
	v_mov_b32_e32 v23, v19
	v_mov_b32_e32 v19, v21
	v_addc_co_u32_e32 v34, vcc, v44, v18, vcc
	v_lshlrev_b64 v[17:18], 3, v[22:23]
	v_mad_u64_u32 v[21:22], s[6:7], s11, v24, v[19:20]
	v_add_u32_e32 v19, 0xd2, v60
	v_mad_u64_u32 v[37:38], s[6:7], s10, v19, 0
	v_add_co_u32_e32 v35, vcc, v43, v17
	v_addc_co_u32_e32 v36, vcc, v44, v18, vcc
	v_lshlrev_b64 v[17:18], 3, v[20:21]
	v_add_co_u32_e32 v39, vcc, v43, v17
	v_mov_b32_e32 v17, v38
	v_mad_u64_u32 v[41:42], s[6:7], s11, v19, v[17:18]
	v_addc_co_u32_e32 v40, vcc, v44, v18, vcc
	v_mov_b32_e32 v38, v41
	global_load_dwordx2 v[21:22], v[25:26], off
	global_load_dwordx2 v[17:18], v[27:28], off
	;; [unrolled: 1-line block ×4, first 2 shown]
	v_lshlrev_b64 v[25:26], 3, v[37:38]
	v_add_co_u32_e32 v37, vcc, v43, v25
	v_addc_co_u32_e32 v38, vcc, v44, v26, vcc
	global_load_dwordx2 v[29:30], v[33:34], off
	global_load_dwordx2 v[25:26], v[35:36], off
	;; [unrolled: 1-line block ×4, first 2 shown]
.LBB0_11:
	s_or_b64 exec, exec, s[2:3]
	s_load_dwordx2 s[18:19], s[4:5], 0x0
	v_add_u32_e32 v63, 56, v60
	s_cbranch_execz .LBB0_13
	s_branch .LBB0_14
.LBB0_12:
                                        ; implicit-def: $vgpr1
                                        ; implicit-def: $vgpr27
                                        ; implicit-def: $vgpr31
                                        ; implicit-def: $vgpr25
                                        ; implicit-def: $vgpr29
                                        ; implicit-def: $vgpr19
                                        ; implicit-def: $vgpr23
                                        ; implicit-def: $vgpr17
                                        ; implicit-def: $vgpr21
                                        ; implicit-def: $vgpr9
                                        ; implicit-def: $vgpr62
                                        ; implicit-def: $vgpr15
                                        ; implicit-def: $vgpr11
                                        ; implicit-def: $vgpr13
                                        ; implicit-def: $vgpr7
                                        ; implicit-def: $vgpr3
                                        ; implicit-def: $vgpr5
                                        ; implicit-def: $vgpr51
                                        ; implicit-def: $vgpr53
	s_load_dwordx2 s[18:19], s[4:5], 0x0
	v_add_u32_e32 v63, 56, v60
.LBB0_13:
	s_waitcnt vmcnt(12)
	v_mad_u64_u32 v[1:2], s[2:3], s12, v61, 0
	v_mad_u64_u32 v[3:4], s[2:3], s10, v60, 0
	v_add_u32_e32 v51, 14, v60
	v_add_u32_e32 v53, 28, v60
	v_mad_u64_u32 v[5:6], s[2:3], s13, v61, v[2:3]
	v_mov_b32_e32 v2, v4
	v_mad_u64_u32 v[6:7], s[2:3], s11, v60, v[2:3]
	s_lshl_b64 s[2:3], s[16:17], 3
	s_add_u32 s6, s14, s2
	s_addc_u32 s2, s15, s3
	v_mov_b32_e32 v2, v5
	v_mov_b32_e32 v4, v6
	;; [unrolled: 1-line block ×3, first 2 shown]
	v_mad_u64_u32 v[5:6], s[2:3], s10, v63, 0
	v_lshlrev_b64 v[1:2], 3, v[1:2]
	v_add_u32_e32 v62, 42, v60
	v_add_co_u32_e32 v52, vcc, s6, v1
	v_addc_co_u32_e32 v68, vcc, v7, v2, vcc
	v_lshlrev_b64 v[1:2], 3, v[3:4]
	v_mov_b32_e32 v3, v6
	v_mad_u64_u32 v[3:4], s[2:3], s11, v63, v[3:4]
	v_add_u32_e32 v4, 0x70, v60
	v_mad_u64_u32 v[7:8], s[2:3], s10, v4, 0
	s_waitcnt vmcnt(2)
	v_add_co_u32_e32 v25, vcc, v52, v1
	v_mov_b32_e32 v6, v3
	v_mov_b32_e32 v3, v8
	v_addc_co_u32_e32 v26, vcc, v68, v2, vcc
	v_lshlrev_b64 v[1:2], 3, v[5:6]
	v_mad_u64_u32 v[3:4], s[2:3], s11, v4, v[3:4]
	v_add_u32_e32 v6, 0xa8, v60
	v_mad_u64_u32 v[4:5], s[2:3], s10, v6, 0
	v_mov_b32_e32 v8, v3
	s_waitcnt vmcnt(0)
	v_add_co_u32_e32 v27, vcc, v52, v1
	v_mov_b32_e32 v3, v5
	v_mad_u64_u32 v[5:6], s[2:3], s11, v6, v[3:4]
	v_addc_co_u32_e32 v28, vcc, v68, v2, vcc
	v_lshlrev_b64 v[1:2], 3, v[7:8]
	v_mad_u64_u32 v[6:7], s[2:3], s10, v51, 0
	v_add_co_u32_e32 v29, vcc, v52, v1
	v_mov_b32_e32 v3, v7
	v_addc_co_u32_e32 v30, vcc, v68, v2, vcc
	v_lshlrev_b64 v[1:2], 3, v[4:5]
	v_mad_u64_u32 v[3:4], s[2:3], s11, v51, v[3:4]
	v_add_u32_e32 v8, 0x46, v60
	v_mad_u64_u32 v[4:5], s[2:3], s10, v8, 0
	v_add_co_u32_e32 v31, vcc, v52, v1
	v_mov_b32_e32 v7, v3
	v_mov_b32_e32 v3, v5
	v_addc_co_u32_e32 v32, vcc, v68, v2, vcc
	v_lshlrev_b64 v[1:2], 3, v[6:7]
	v_mad_u64_u32 v[5:6], s[2:3], s11, v8, v[3:4]
	v_add_u32_e32 v8, 0x7e, v60
	v_mad_u64_u32 v[6:7], s[2:3], s10, v8, 0
	v_add_co_u32_e32 v33, vcc, v52, v1
	v_mov_b32_e32 v3, v7
	v_addc_co_u32_e32 v34, vcc, v68, v2, vcc
	v_lshlrev_b64 v[1:2], 3, v[4:5]
	v_mad_u64_u32 v[3:4], s[2:3], s11, v8, v[3:4]
	v_add_u32_e32 v8, 0xb6, v60
	v_mad_u64_u32 v[4:5], s[2:3], s10, v8, 0
	v_add_co_u32_e32 v35, vcc, v52, v1
	v_mov_b32_e32 v7, v3
	v_mov_b32_e32 v3, v5
	v_addc_co_u32_e32 v36, vcc, v68, v2, vcc
	v_lshlrev_b64 v[1:2], 3, v[6:7]
	v_mad_u64_u32 v[5:6], s[2:3], s11, v8, v[3:4]
	v_mad_u64_u32 v[6:7], s[2:3], s10, v53, 0
	v_add_co_u32_e32 v37, vcc, v52, v1
	v_mov_b32_e32 v3, v7
	v_addc_co_u32_e32 v38, vcc, v68, v2, vcc
	v_lshlrev_b64 v[1:2], 3, v[4:5]
	v_mad_u64_u32 v[3:4], s[2:3], s11, v53, v[3:4]
	v_add_u32_e32 v8, 0x54, v60
	v_mad_u64_u32 v[4:5], s[2:3], s10, v8, 0
	v_add_co_u32_e32 v39, vcc, v52, v1
	v_mov_b32_e32 v7, v3
	v_mov_b32_e32 v3, v5
	v_addc_co_u32_e32 v40, vcc, v68, v2, vcc
	v_lshlrev_b64 v[1:2], 3, v[6:7]
	v_mad_u64_u32 v[5:6], s[2:3], s11, v8, v[3:4]
	v_add_u32_e32 v8, 0x8c, v60
	v_mad_u64_u32 v[6:7], s[2:3], s10, v8, 0
	v_add_co_u32_e32 v41, vcc, v52, v1
	v_mov_b32_e32 v3, v7
	v_addc_co_u32_e32 v42, vcc, v68, v2, vcc
	v_lshlrev_b64 v[1:2], 3, v[4:5]
	v_mad_u64_u32 v[3:4], s[2:3], s11, v8, v[3:4]
	v_add_u32_e32 v8, 0xc4, v60
	v_mad_u64_u32 v[4:5], s[2:3], s10, v8, 0
	v_add_co_u32_e32 v43, vcc, v52, v1
	v_mov_b32_e32 v7, v3
	v_mov_b32_e32 v3, v5
	v_addc_co_u32_e32 v44, vcc, v68, v2, vcc
	v_lshlrev_b64 v[1:2], 3, v[6:7]
	v_mad_u64_u32 v[5:6], s[2:3], s11, v8, v[3:4]
	v_mad_u64_u32 v[6:7], s[2:3], s10, v62, 0
	v_add_co_u32_e32 v45, vcc, v52, v1
	v_mov_b32_e32 v3, v7
	v_addc_co_u32_e32 v46, vcc, v68, v2, vcc
	v_lshlrev_b64 v[1:2], 3, v[4:5]
	v_mad_u64_u32 v[3:4], s[2:3], s11, v62, v[3:4]
	v_add_u32_e32 v8, 0x62, v60
	v_mad_u64_u32 v[4:5], s[2:3], s10, v8, 0
	v_add_co_u32_e32 v47, vcc, v52, v1
	v_mov_b32_e32 v7, v3
	v_mov_b32_e32 v3, v5
	v_addc_co_u32_e32 v48, vcc, v68, v2, vcc
	v_lshlrev_b64 v[1:2], 3, v[6:7]
	v_mad_u64_u32 v[5:6], s[2:3], s11, v8, v[3:4]
	v_add_u32_e32 v8, 0x9a, v60
	v_mad_u64_u32 v[6:7], s[2:3], s10, v8, 0
	v_add_co_u32_e32 v54, vcc, v52, v1
	v_mov_b32_e32 v3, v7
	v_addc_co_u32_e32 v55, vcc, v68, v2, vcc
	v_lshlrev_b64 v[1:2], 3, v[4:5]
	v_mad_u64_u32 v[3:4], s[2:3], s11, v8, v[3:4]
	v_add_co_u32_e32 v56, vcc, v52, v1
	v_mov_b32_e32 v7, v3
	v_add_u32_e32 v3, 0xd2, v60
	v_mad_u64_u32 v[58:59], s[2:3], s10, v3, 0
	v_addc_co_u32_e32 v57, vcc, v68, v2, vcc
	v_lshlrev_b64 v[1:2], 3, v[6:7]
	v_add_co_u32_e32 v64, vcc, v52, v1
	v_mov_b32_e32 v1, v59
	v_addc_co_u32_e32 v65, vcc, v68, v2, vcc
	v_mad_u64_u32 v[66:67], s[2:3], s11, v3, v[1:2]
	global_load_dwordx2 v[5:6], v[25:26], off
	global_load_dwordx2 v[3:4], v[27:28], off
	;; [unrolled: 1-line block ×12, first 2 shown]
	v_mov_b32_e32 v59, v66
	v_lshlrev_b64 v[25:26], 3, v[58:59]
	v_add_co_u32_e32 v33, vcc, v52, v25
	v_addc_co_u32_e32 v34, vcc, v68, v26, vcc
	global_load_dwordx2 v[29:30], v[54:55], off
	global_load_dwordx2 v[25:26], v[56:57], off
	;; [unrolled: 1-line block ×4, first 2 shown]
.LBB0_14:
	s_waitcnt vmcnt(13)
	v_sub_f32_e32 v34, v6, v8
	s_waitcnt vmcnt(12)
	v_sub_f32_e32 v1, v3, v1
	v_sub_f32_e32 v33, v5, v7
	;; [unrolled: 1-line block ×3, first 2 shown]
	v_fma_f32 v3, v3, 2.0, -v1
	v_add_f32_e32 v8, v34, v1
	s_waitcnt vmcnt(9)
	v_sub_f32_e32 v1, v13, v15
	s_waitcnt vmcnt(8)
	v_sub_f32_e32 v15, v11, v9
	v_fma_f32 v4, v4, 2.0, -v2
	v_sub_f32_e32 v7, v33, v2
	v_sub_f32_e32 v2, v14, v16
	v_fma_f32 v13, v13, 2.0, -v1
	v_sub_f32_e32 v16, v12, v10
	v_fma_f32 v9, v11, 2.0, -v15
	v_fma_f32 v14, v14, 2.0, -v2
	;; [unrolled: 1-line block ×3, first 2 shown]
	v_sub_f32_e32 v9, v13, v9
	v_sub_f32_e32 v10, v14, v10
	v_fma_f32 v11, v13, 2.0, -v9
	v_sub_f32_e32 v13, v1, v16
	v_fma_f32 v12, v14, 2.0, -v10
	v_add_f32_e32 v14, v2, v15
	v_fma_f32 v15, v1, 2.0, -v13
	s_waitcnt vmcnt(5)
	v_sub_f32_e32 v1, v21, v23
	s_waitcnt vmcnt(4)
	v_sub_f32_e32 v23, v17, v19
	v_fma_f32 v16, v2, 2.0, -v14
	v_sub_f32_e32 v2, v22, v24
	v_fma_f32 v21, v21, 2.0, -v1
	;; [unrolled: 2-line block ×3, first 2 shown]
	v_fma_f32 v22, v22, 2.0, -v2
	v_fma_f32 v18, v18, 2.0, -v24
	v_sub_f32_e32 v17, v21, v17
	v_fma_f32 v5, v5, 2.0, -v33
	v_fma_f32 v6, v6, 2.0, -v34
	v_sub_f32_e32 v18, v22, v18
	v_fma_f32 v19, v21, 2.0, -v17
	v_sub_f32_e32 v21, v1, v24
	s_waitcnt vmcnt(1)
	v_sub_f32_e32 v31, v29, v31
	v_sub_f32_e32 v3, v5, v3
	;; [unrolled: 1-line block ×3, first 2 shown]
	v_fma_f32 v20, v22, 2.0, -v18
	v_add_f32_e32 v22, v2, v23
	v_fma_f32 v23, v1, 2.0, -v21
	v_fma_f32 v1, v29, 2.0, -v31
	v_mul_u32_u24_e32 v29, 0x1c0, v60
	v_lshlrev_b32_e32 v65, 3, v61
	v_fma_f32 v5, v5, 2.0, -v3
	v_fma_f32 v6, v6, 2.0, -v4
	;; [unrolled: 1-line block ×4, first 2 shown]
	v_add3_u32 v29, 0, v29, v65
	ds_write2_b64 v29, v[5:6], v[33:34] offset1:14
	ds_write2_b64 v29, v[3:4], v[7:8] offset0:28 offset1:42
	v_mul_i32_i24_e32 v3, 0x1c0, v51
	v_sub_f32_e32 v32, v30, v32
	s_waitcnt vmcnt(0)
	v_sub_f32_e32 v27, v25, v27
	v_sub_f32_e32 v28, v26, v28
	v_add3_u32 v3, 0, v3, v65
	v_fma_f32 v24, v2, 2.0, -v22
	v_fma_f32 v2, v30, 2.0, -v32
	v_fma_f32 v25, v25, 2.0, -v27
	v_fma_f32 v26, v26, 2.0, -v28
	ds_write2_b64 v3, v[11:12], v[15:16] offset1:14
	ds_write2_b64 v3, v[9:10], v[13:14] offset0:28 offset1:42
	v_mul_i32_i24_e32 v3, 0x1c0, v53
	v_sub_f32_e32 v54, v1, v25
	v_sub_f32_e32 v55, v2, v26
	v_add3_u32 v3, 0, v3, v65
	v_fma_f32 v25, v1, 2.0, -v54
	v_fma_f32 v26, v2, 2.0, -v55
	v_sub_f32_e32 v1, v31, v28
	v_add_f32_e32 v2, v32, v27
	ds_write2_b64 v3, v[19:20], v[23:24] offset1:14
	ds_write2_b64 v3, v[17:18], v[21:22] offset0:28 offset1:42
	v_mul_i32_i24_e32 v3, 0x1c0, v62
	v_fma_f32 v27, v31, 2.0, -v1
	v_fma_f32 v28, v32, 2.0, -v2
	v_add3_u32 v3, 0, v3, v65
	ds_write2_b64 v3, v[25:26], v[27:28] offset1:14
	ds_write2_b64 v3, v[54:55], v[1:2] offset0:28 offset1:42
	v_mul_u32_u24_e32 v3, 0x70, v60
	v_add3_u32 v64, 0, v3, v65
	v_add_u32_e32 v3, 0x1420, v64
	s_waitcnt lgkmcnt(0)
	s_barrier
	ds_read2_b64 v[45:48], v3 offset1:252
	v_add_u32_e32 v3, 0x2220, v64
	ds_read2_b64 v[41:44], v3 offset1:252
	v_add_u32_e32 v3, 0x3020, v64
	ds_read2_b64 v[37:40], v3 offset1:252
	v_add_u32_e32 v3, 0x3e20, v64
	ds_read2_b64 v[33:36], v3 offset1:252
	v_add_u32_e32 v3, 0x4c20, v64
	ds_read2_b64 v[29:32], v3 offset1:252
	v_mul_i32_i24_e32 v3, 0x70, v51
	v_add3_u32 v52, 0, v3, v65
	ds_read2st64_b64 v[25:28], v64 offset1:7
	ds_read_b64 v[56:57], v52
	ds_read_b64 v[58:59], v64 offset:23072
	s_movk_i32 s6, 0x70
	v_cmp_gt_u32_e32 vcc, 56, v0
                                        ; implicit-def: $vgpr8
                                        ; implicit-def: $vgpr12
	s_and_saveexec_b64 s[2:3], vcc
	s_cbranch_execz .LBB0_16
; %bb.15:
	v_mul_i32_i24_e32 v1, 0x70, v53
	v_add3_u32 v1, 0, v1, v65
	v_add_u32_e32 v9, 64, v64
	ds_read_b64 v[54:55], v1
	ds_read2st64_b64 v[1:4], v9 offset0:13 offset1:20
	ds_read2st64_b64 v[5:8], v9 offset0:27 offset1:34
	ds_read2st64_b64 v[9:12], v9 offset0:41 offset1:48
.LBB0_16:
	s_or_b64 exec, exec, s[2:3]
	v_and_b32_e32 v74, 3, v60
	v_mul_u32_u24_e32 v13, 6, v74
	v_lshlrev_b32_e32 v75, 3, v13
	global_load_dwordx4 v[13:16], v75, s[18:19]
	v_and_b32_e32 v76, 3, v51
	v_mul_u32_u24_e32 v17, 6, v76
	v_lshlrev_b32_e32 v77, 3, v17
	global_load_dwordx4 v[66:69], v77, s[18:19]
	global_load_dwordx4 v[21:24], v75, s[18:19] offset:16
	global_load_dwordx4 v[70:73], v77, s[18:19] offset:16
	;; [unrolled: 1-line block ×3, first 2 shown]
	s_mov_b32 s7, 0x3f5ff5aa
	s_mov_b32 s8, 0x3f3bfb3b
	;; [unrolled: 1-line block ×4, first 2 shown]
	s_waitcnt vmcnt(4) lgkmcnt(7)
	v_mul_f32_e32 v75, v16, v48
	v_mul_f32_e32 v78, v16, v47
	s_waitcnt vmcnt(3)
	v_mul_f32_e32 v79, v67, v46
	v_mul_f32_e32 v67, v67, v45
	v_fma_f32 v75, v15, v47, -v75
	v_fmac_f32_e32 v78, v15, v48
	v_fma_f32 v79, v66, v45, -v79
	v_fmac_f32_e32 v67, v66, v46
	global_load_dwordx4 v[45:48], v77, s[18:19] offset:32
	s_waitcnt lgkmcnt(6)
	v_mul_f32_e32 v66, v69, v42
	v_mul_f32_e32 v69, v69, v41
	s_waitcnt vmcnt(3)
	v_mul_f32_e32 v77, v22, v43
	v_fma_f32 v41, v68, v41, -v66
	v_fmac_f32_e32 v69, v68, v42
	v_mul_f32_e32 v68, v22, v44
	v_fmac_f32_e32 v77, v21, v44
	s_waitcnt lgkmcnt(5)
	v_mul_f32_e32 v44, v24, v40
	v_fma_f32 v43, v21, v43, -v68
	v_mul_f32_e32 v68, v24, v39
	s_waitcnt vmcnt(2)
	v_mul_f32_e32 v80, v38, v71
	v_mul_f32_e32 v71, v37, v71
	v_fma_f32 v39, v23, v39, -v44
	s_waitcnt lgkmcnt(4)
	v_mul_f32_e32 v44, v34, v73
	s_waitcnt lgkmcnt(2)
	v_mul_f32_e32 v42, v14, v28
	v_mul_f32_e32 v66, v14, v27
	v_fmac_f32_e32 v68, v23, v40
	v_fma_f32 v40, v37, v70, -v80
	v_fmac_f32_e32 v71, v38, v70
	s_waitcnt vmcnt(1)
	v_mul_f32_e32 v37, v18, v36
	v_mul_f32_e32 v70, v33, v73
	v_fma_f32 v44, v33, v72, -v44
	v_mul_f32_e32 v33, v20, v32
	v_mul_f32_e32 v38, v18, v35
	v_fmac_f32_e32 v70, v34, v72
	v_mul_f32_e32 v34, v20, v31
	v_fma_f32 v35, v17, v35, -v37
	v_fma_f32 v27, v13, v27, -v42
	v_fmac_f32_e32 v66, v13, v28
	v_fma_f32 v28, v19, v31, -v33
	v_fmac_f32_e32 v38, v17, v36
	v_fmac_f32_e32 v34, v19, v32
	v_add_f32_e32 v31, v75, v35
	v_add_f32_e32 v32, v78, v38
	v_sub_f32_e32 v33, v75, v35
	v_add_f32_e32 v35, v43, v39
	v_sub_f32_e32 v37, v39, v43
	s_waitcnt vmcnt(0) lgkmcnt(0)
	s_barrier
	v_mul_f32_e32 v72, v30, v46
	v_mul_f32_e32 v46, v29, v46
	v_fma_f32 v42, v29, v45, -v72
	v_add_f32_e32 v29, v27, v28
	v_mul_f32_e32 v36, v59, v48
	v_mul_f32_e32 v48, v58, v48
	v_fmac_f32_e32 v46, v30, v45
	v_add_f32_e32 v30, v66, v34
	v_add_f32_e32 v39, v31, v29
	v_fma_f32 v45, v58, v47, -v36
	v_fmac_f32_e32 v48, v59, v47
	v_add_f32_e32 v36, v77, v68
	v_add_f32_e32 v43, v32, v30
	v_sub_f32_e32 v47, v31, v29
	v_sub_f32_e32 v29, v29, v35
	;; [unrolled: 1-line block ×3, first 2 shown]
	v_add_f32_e32 v35, v35, v39
	v_sub_f32_e32 v27, v27, v28
	v_sub_f32_e32 v28, v66, v34
	;; [unrolled: 1-line block ×7, first 2 shown]
	v_add_f32_e32 v36, v36, v43
	v_add_f32_e32 v25, v35, v25
	v_add_f32_e32 v59, v37, v33
	v_add_f32_e32 v66, v38, v34
	v_sub_f32_e32 v68, v37, v33
	v_sub_f32_e32 v72, v38, v34
	;; [unrolled: 1-line block ×4, first 2 shown]
	v_add_f32_e32 v26, v36, v26
	v_mov_b32_e32 v73, v25
	v_sub_f32_e32 v37, v27, v37
	v_sub_f32_e32 v38, v28, v38
	v_add_f32_e32 v27, v59, v27
	v_add_f32_e32 v28, v66, v28
	v_mul_f32_e32 v29, 0x3f4a47b2, v29
	v_mul_f32_e32 v30, 0x3f4a47b2, v30
	;; [unrolled: 1-line block ×8, first 2 shown]
	v_fmac_f32_e32 v73, 0xbf955555, v35
	v_mov_b32_e32 v35, v26
	v_fmac_f32_e32 v35, 0xbf955555, v36
	v_fma_f32 v36, v47, s8, -v39
	v_fma_f32 v39, v58, s8, -v43
	;; [unrolled: 1-line block ×3, first 2 shown]
	v_fmac_f32_e32 v29, 0x3d64c772, v31
	v_fma_f32 v31, v58, s9, -v30
	v_fma_f32 v47, v33, s7, -v59
	v_fmac_f32_e32 v59, 0x3eae86e6, v37
	v_fma_f32 v33, v34, s7, -v66
	v_fmac_f32_e32 v66, 0x3eae86e6, v38
	v_fma_f32 v37, v37, s22, -v68
	v_fma_f32 v38, v38, s22, -v72
	v_fmac_f32_e32 v30, 0x3d64c772, v32
	v_add_f32_e32 v34, v36, v73
	v_add_f32_e32 v36, v39, v35
	;; [unrolled: 1-line block ×4, first 2 shown]
	v_fmac_f32_e32 v47, 0x3ee1c552, v27
	v_fmac_f32_e32 v33, 0x3ee1c552, v28
	;; [unrolled: 1-line block ×4, first 2 shown]
	v_add_f32_e32 v58, v29, v73
	v_add_f32_e32 v68, v30, v35
	v_fmac_f32_e32 v66, 0x3ee1c552, v28
	v_add_f32_e32 v29, v38, v39
	v_sub_f32_e32 v30, v43, v37
	v_sub_f32_e32 v31, v34, v33
	v_add_f32_e32 v32, v47, v36
	v_add_f32_e32 v33, v33, v34
	v_sub_f32_e32 v34, v36, v47
	v_sub_f32_e32 v35, v39, v38
	v_add_f32_e32 v36, v37, v43
	v_add_f32_e32 v39, v79, v45
	;; [unrolled: 1-line block ×3, first 2 shown]
	v_sub_f32_e32 v47, v67, v48
	v_add_f32_e32 v48, v41, v42
	v_fmac_f32_e32 v59, 0x3ee1c552, v27
	v_add_f32_e32 v27, v66, v58
	v_sub_f32_e32 v37, v58, v66
	v_add_f32_e32 v58, v69, v46
	v_sub_f32_e32 v41, v41, v42
	v_sub_f32_e32 v42, v69, v46
	v_add_f32_e32 v46, v40, v44
	v_sub_f32_e32 v40, v44, v40
	v_add_f32_e32 v66, v48, v39
	;; [unrolled: 2-line block ×5, first 2 shown]
	v_sub_f32_e32 v68, v48, v39
	v_sub_f32_e32 v70, v39, v46
	;; [unrolled: 1-line block ×3, first 2 shown]
	v_add_f32_e32 v39, v40, v41
	v_add_f32_e32 v46, v46, v66
	v_sub_f32_e32 v69, v58, v43
	v_sub_f32_e32 v43, v43, v59
	;; [unrolled: 1-line block ×7, first 2 shown]
	v_add_f32_e32 v59, v59, v67
	v_add_f32_e32 v45, v39, v45
	;; [unrolled: 1-line block ×4, first 2 shown]
	v_sub_f32_e32 v42, v42, v47
	v_add_f32_e32 v40, v59, v57
	v_mul_f32_e32 v56, 0x3f4a47b2, v70
	v_mul_f32_e32 v70, 0xbf08b237, v73
	v_mov_b32_e32 v73, v39
	v_sub_f32_e32 v44, v47, v44
	v_add_f32_e32 v47, v71, v47
	v_mul_f32_e32 v43, 0x3f4a47b2, v43
	v_mul_f32_e32 v57, 0x3d64c772, v48
	;; [unrolled: 1-line block ×6, first 2 shown]
	v_fmac_f32_e32 v73, 0xbf955555, v46
	v_mov_b32_e32 v46, v40
	v_fmac_f32_e32 v46, 0xbf955555, v59
	v_fma_f32 v57, v68, s8, -v57
	v_fma_f32 v59, v69, s8, -v66
	v_fma_f32 v66, v68, s9, -v56
	v_fmac_f32_e32 v56, 0x3d64c772, v48
	v_fma_f32 v48, v69, s9, -v43
	v_fmac_f32_e32 v43, 0x3d64c772, v58
	v_fma_f32 v58, v41, s7, -v67
	;; [unrolled: 2-line block ×3, first 2 shown]
	v_fma_f32 v69, v75, s22, -v71
	v_fma_f32 v71, v44, s22, -v72
	v_fmac_f32_e32 v70, 0x3eae86e6, v44
	v_add_f32_e32 v72, v56, v73
	v_add_f32_e32 v75, v43, v46
	;; [unrolled: 1-line block ×6, first 2 shown]
	v_fmac_f32_e32 v67, 0x3ee1c552, v45
	v_fmac_f32_e32 v58, 0x3ee1c552, v45
	;; [unrolled: 1-line block ×6, first 2 shown]
	v_sub_f32_e32 v42, v75, v67
	v_add_f32_e32 v43, v71, v59
	v_sub_f32_e32 v44, v66, v69
	v_sub_f32_e32 v45, v56, v68
	v_add_f32_e32 v46, v58, v57
	v_add_f32_e32 v47, v68, v56
	v_sub_f32_e32 v48, v57, v58
	v_sub_f32_e32 v56, v59, v71
	v_add_f32_e32 v57, v69, v66
	v_add_f32_e32 v59, v67, v75
	v_lshrrev_b32_e32 v66, 2, v60
	v_lshrrev_b32_e32 v67, 2, v51
	v_mul_u32_u24_e32 v66, 28, v66
	v_mul_lo_u32 v67, v67, 28
	v_or_b32_e32 v66, v66, v74
	v_mul_u32_u24_e32 v66, 0x70, v66
	v_add3_u32 v66, 0, v66, v65
	ds_write2_b64 v66, v[25:26], v[27:28] offset1:56
	ds_write2_b64 v66, v[29:30], v[31:32] offset0:112 offset1:168
	v_or_b32_e32 v25, v67, v76
	v_mul_lo_u32 v25, v25, s6
	v_add_u32_e32 v26, 0x400, v66
	v_add_f32_e32 v41, v70, v72
	ds_write2_b64 v26, v[33:34], v[35:36] offset0:96 offset1:152
	ds_write_b64 v66, v[37:38] offset:2688
	v_add3_u32 v25, 0, v25, v65
	v_add_u32_e32 v26, 0x400, v25
	v_sub_f32_e32 v58, v72, v70
	ds_write2_b64 v25, v[39:40], v[41:42] offset1:56
	ds_write2_b64 v25, v[43:44], v[45:46] offset0:112 offset1:168
	ds_write2_b64 v26, v[47:48], v[56:57] offset0:96 offset1:152
	ds_write_b64 v25, v[58:59] offset:2688
	s_and_saveexec_b64 s[2:3], vcc
	s_cbranch_execz .LBB0_18
; %bb.17:
	v_mul_f32_e32 v26, v12, v20
	v_mul_f32_e32 v29, v6, v22
	v_fma_f32 v26, v11, v19, -v26
	v_fma_f32 v29, v5, v21, -v29
	v_mul_f32_e32 v11, v11, v20
	v_mul_f32_e32 v5, v5, v22
	v_fmac_f32_e32 v11, v12, v19
	v_mul_f32_e32 v12, v1, v14
	v_fmac_f32_e32 v5, v6, v21
	v_mul_f32_e32 v6, v7, v24
	v_mul_f32_e32 v25, v2, v14
	;; [unrolled: 1-line block ×3, first 2 shown]
	v_fmac_f32_e32 v12, v2, v13
	v_fmac_f32_e32 v6, v8, v23
	v_fma_f32 v25, v1, v13, -v25
	v_mul_f32_e32 v28, v8, v24
	v_fma_f32 v32, v3, v15, -v32
	v_add_f32_e32 v13, v12, v11
	v_add_f32_e32 v1, v5, v6
	v_mul_f32_e32 v8, v9, v18
	v_mul_f32_e32 v3, v3, v16
	;; [unrolled: 1-line block ×3, first 2 shown]
	v_sub_f32_e32 v2, v13, v1
	v_fmac_f32_e32 v8, v10, v17
	v_fmac_f32_e32 v3, v4, v15
	v_fma_f32 v28, v7, v23, -v28
	v_fma_f32 v33, v9, v17, -v33
	v_mul_f32_e32 v7, 0x3f4a47b2, v2
	v_add_f32_e32 v9, v3, v8
	v_sub_f32_e32 v2, v1, v9
	v_mov_b32_e32 v4, v7
	v_mul_f32_e32 v10, 0x3d64c772, v2
	v_fmac_f32_e32 v4, 0x3d64c772, v2
	v_add_f32_e32 v2, v9, v13
	v_add_f32_e32 v1, v1, v2
	;; [unrolled: 1-line block ×3, first 2 shown]
	v_mov_b32_e32 v14, v2
	v_fmac_f32_e32 v14, 0xbf955555, v1
	v_add_f32_e32 v16, v25, v26
	v_add_f32_e32 v1, v29, v28
	v_sub_f32_e32 v17, v16, v1
	v_mul_f32_e32 v17, 0x3f4a47b2, v17
	v_add_f32_e32 v18, v32, v33
	v_sub_f32_e32 v19, v1, v18
	v_mov_b32_e32 v21, v17
	v_mul_f32_e32 v20, 0x3d64c772, v19
	v_fmac_f32_e32 v21, 0x3d64c772, v19
	v_add_f32_e32 v19, v18, v16
	v_add_f32_e32 v19, v1, v19
	;; [unrolled: 1-line block ×3, first 2 shown]
	v_sub_f32_e32 v27, v25, v26
	v_sub_f32_e32 v34, v32, v33
	v_mov_b32_e32 v22, v1
	v_sub_f32_e32 v5, v6, v5
	v_sub_f32_e32 v8, v3, v8
	;; [unrolled: 1-line block ×3, first 2 shown]
	v_fmac_f32_e32 v22, 0xbf955555, v19
	v_sub_f32_e32 v11, v12, v11
	v_sub_f32_e32 v3, v5, v8
	;; [unrolled: 1-line block ×5, first 2 shown]
	v_add_f32_e32 v19, v21, v22
	v_sub_f32_e32 v12, v11, v5
	v_mul_f32_e32 v21, 0xbf08b237, v3
	v_add_f32_e32 v3, v5, v8
	v_mul_f32_e32 v5, 0x3f5ff5aa, v25
	v_sub_f32_e32 v9, v9, v13
	v_mul_f32_e32 v35, 0xbf08b237, v35
	v_fma_f32 v26, v31, s22, -v5
	v_fma_f32 v5, v9, s9, -v7
	v_sub_f32_e32 v7, v18, v16
	v_mov_b32_e32 v36, v35
	v_add_f32_e32 v30, v30, v34
	v_mov_b32_e32 v23, v21
	v_add_f32_e32 v24, v3, v11
	v_add_f32_e32 v13, v5, v14
	v_fma_f32 v5, v7, s9, -v17
	v_sub_f32_e32 v11, v8, v11
	v_fmac_f32_e32 v36, 0x3eae86e6, v31
	v_add_f32_e32 v30, v30, v27
	v_fmac_f32_e32 v23, 0x3eae86e6, v12
	v_add_f32_e32 v16, v5, v22
	v_mul_f32_e32 v5, 0x3f5ff5aa, v11
	v_fma_f32 v8, v9, s8, -v10
	v_fma_f32 v10, v25, s7, -v35
	;; [unrolled: 1-line block ×4, first 2 shown]
	v_fmac_f32_e32 v36, 0x3ee1c552, v30
	v_add_f32_e32 v15, v4, v14
	v_fmac_f32_e32 v23, 0x3ee1c552, v24
	v_fmac_f32_e32 v26, 0x3ee1c552, v30
	v_fma_f32 v17, v12, s22, -v5
	v_add_f32_e32 v9, v8, v14
	v_fmac_f32_e32 v10, 0x3ee1c552, v30
	v_fmac_f32_e32 v11, 0x3ee1c552, v24
	v_add_f32_e32 v12, v7, v22
	v_add_f32_e32 v4, v36, v15
	v_add_f32_e32 v6, v26, v13
	v_fmac_f32_e32 v17, 0x3ee1c552, v24
	v_sub_f32_e32 v8, v9, v10
	v_add_f32_e32 v7, v11, v12
	v_add_f32_e32 v10, v10, v9
	v_sub_f32_e32 v9, v12, v11
	v_sub_f32_e32 v12, v13, v26
	;; [unrolled: 1-line block ×3, first 2 shown]
	v_add_f32_e32 v13, v23, v19
	v_add_u32_e32 v15, 0x5000, v64
	v_add_f32_e32 v11, v17, v16
	ds_write2_b64 v15, v[1:2], v[13:14] offset0:184 offset1:240
	v_add_u32_e32 v1, 0x5800, v64
	v_sub_f32_e32 v3, v19, v23
	v_sub_f32_e32 v5, v16, v17
	ds_write2_b64 v1, v[11:12], v[9:10] offset0:40 offset1:96
	ds_write2_b64 v1, v[7:8], v[5:6] offset0:152 offset1:208
	ds_write_b64 v64, v[3:4] offset:24640
.LBB0_18:
	s_or_b64 exec, exec, s[2:3]
	v_lshrrev_b16_e32 v2, 2, v51
	v_mul_lo_u16_e32 v1, 37, v60
	v_and_b32_e32 v2, 63, v2
	v_lshrrev_b16_e32 v20, 10, v1
	v_mul_lo_u16_e32 v2, 37, v2
	v_mul_lo_u16_e32 v1, 28, v20
	v_lshrrev_b16_e32 v45, 8, v2
	v_sub_u16_e32 v1, v60, v1
	v_mul_lo_u16_e32 v2, 28, v45
	v_and_b32_e32 v24, 0xff, v1
	v_sub_u16_e32 v2, v51, v2
	v_lshlrev_b32_e32 v1, 3, v24
	v_and_b32_e32 v46, 0xff, v2
	s_waitcnt lgkmcnt(0)
	s_barrier
	v_lshlrev_b32_e32 v2, 3, v46
	global_load_dwordx2 v[13:14], v1, s[18:19] offset:192
	global_load_dwordx2 v[16:17], v2, s[18:19] offset:192
	v_lshrrev_b16_e32 v1, 2, v53
	v_and_b32_e32 v1, 63, v1
	v_mul_lo_u16_e32 v1, 37, v1
	v_lshrrev_b16_e32 v47, 8, v1
	v_mul_lo_u16_e32 v1, 28, v47
	v_sub_u16_e32 v1, v53, v1
	v_and_b32_e32 v48, 0xff, v1
	v_mov_b32_e32 v1, 2
	v_lshrrev_b16_sdwa v1, v1, v62 dst_sel:DWORD dst_unused:UNUSED_PAD src0_sel:DWORD src1_sel:BYTE_0
	v_mul_lo_u16_e32 v1, 37, v1
	v_lshrrev_b16_e32 v54, 8, v1
	v_mul_lo_u16_e32 v1, 28, v54
	v_sub_u16_e32 v1, v62, v1
	v_add_u32_e32 v26, 0x46, v60
	v_and_b32_e32 v55, 0xff, v1
	v_mul_lo_u16_e32 v56, 0x93, v63
	v_lshlrev_b32_e32 v1, 3, v55
	v_lshrrev_b16_e32 v57, 12, v56
	v_mul_lo_u16_e32 v59, 0x93, v26
	global_load_dwordx2 v[18:19], v1, s[18:19] offset:192
	v_mul_lo_u16_e32 v1, 28, v57
	v_lshrrev_b16_e32 v66, 12, v59
	v_add_u32_e32 v25, 0x54, v60
	v_sub_u16_e32 v1, v63, v1
	v_mul_lo_u16_e32 v2, 28, v66
	v_and_b32_e32 v58, 0xff, v1
	v_sub_u16_e32 v2, v26, v2
	v_mul_lo_u16_e32 v68, 0x93, v25
	v_lshlrev_b32_e32 v1, 3, v58
	v_and_b32_e32 v67, 0xff, v2
	v_lshrrev_b16_e32 v69, 12, v68
	global_load_dwordx2 v[22:23], v1, s[18:19] offset:192
	v_lshlrev_b32_e32 v1, 3, v67
	v_mul_lo_u16_e32 v2, 28, v69
	global_load_dwordx2 v[31:32], v1, s[18:19] offset:192
	v_sub_u16_e32 v1, v25, v2
	v_and_b32_e32 v70, 0xff, v1
	v_lshlrev_b32_e32 v1, 3, v70
	global_load_dwordx2 v[33:34], v1, s[18:19] offset:192
	v_lshlrev_b32_e32 v1, 3, v48
	v_add_u32_e32 v27, 0x62, v60
	global_load_dwordx2 v[35:36], v1, s[18:19] offset:192
	v_lshrrev_b16_e32 v1, 2, v27
	v_mul_lo_u16_e32 v1, 37, v1
	v_lshrrev_b16_e32 v71, 8, v1
	v_mul_lo_u16_e32 v1, 28, v71
	v_sub_u16_e32 v1, v27, v1
	v_and_b32_e32 v72, 0xff, v1
	v_lshlrev_b32_e32 v1, 3, v72
	global_load_dwordx2 v[37:38], v1, s[18:19] offset:192
	v_add_u32_e32 v28, 0x3000, v64
	ds_read2_b64 v[1:4], v28 offset0:32 offset1:228
	v_mul_i32_i24_e32 v5, 0x70, v53
	v_mul_i32_i24_e32 v6, 0x70, v62
	v_add_u32_e32 v7, 0x4200, v64
	v_add_u32_e32 v21, 0x3c00, v64
	v_mul_u32_u24_e32 v9, 0x70, v63
	v_add_u32_e32 v73, 0x4e00, v64
	v_add3_u32 v29, 0, v5, v65
	v_add3_u32 v30, 0, v6, v65
	ds_read2_b64 v[5:8], v7 offset0:44 offset1:240
	ds_read_b64 v[39:40], v64
	ds_read2_b32 v[41:42], v21 offset0:80 offset1:81
	v_add3_u32 v15, 0, v9, v65
	ds_read_b64 v[43:44], v30
	ds_read2_b64 v[9:12], v15 offset1:196
	v_mad_u32_u24 v20, v20, 56, v24
	v_mul_u32_u24_e32 v20, 0x70, v20
	v_add3_u32 v20, 0, v20, v65
	s_movk_i32 s2, 0x310
	v_cmp_gt_u32_e32 vcc, s2, v0
	v_lshrrev_b16_e32 v24, 13, v56
	v_lshrrev_b16_e32 v68, 13, v68
	s_movk_i32 s22, 0x70
	s_waitcnt vmcnt(7) lgkmcnt(5)
	v_mul_f32_e32 v74, v14, v2
	v_mul_f32_e32 v75, v14, v1
	v_fma_f32 v74, v13, v1, -v74
	s_waitcnt vmcnt(6)
	v_mul_f32_e32 v1, v17, v4
	v_mul_f32_e32 v77, v17, v3
	v_fmac_f32_e32 v75, v13, v2
	v_fma_f32 v76, v16, v3, -v1
	v_fmac_f32_e32 v77, v16, v4
	ds_read2_b64 v[1:4], v73 offset0:52 offset1:248
	v_add_u32_e32 v73, 0xc00, v15
	s_waitcnt vmcnt(5) lgkmcnt(5)
	v_mul_f32_e32 v13, v6, v19
	v_fma_f32 v78, v5, v18, -v13
	v_mul_f32_e32 v79, v5, v19
	v_fmac_f32_e32 v79, v6, v18
	s_waitcnt vmcnt(4)
	v_mul_f32_e32 v5, v8, v23
	v_mul_f32_e32 v81, v7, v23
	v_fma_f32 v80, v7, v22, -v5
	s_waitcnt vmcnt(3) lgkmcnt(0)
	v_mul_f32_e32 v13, v2, v32
	v_fma_f32 v82, v1, v31, -v13
	v_mul_f32_e32 v83, v1, v32
	v_fmac_f32_e32 v81, v8, v22
	s_waitcnt vmcnt(2)
	v_mul_f32_e32 v1, v4, v34
	v_mul_f32_e32 v85, v3, v34
	ds_read2_b64 v[5:8], v73 offset0:8 offset1:204
	v_fmac_f32_e32 v83, v2, v31
	v_fma_f32 v84, v3, v33, -v1
	v_fmac_f32_e32 v85, v4, v33
	ds_read_b64 v[1:2], v29
	ds_read_b64 v[3:4], v52
	ds_read_b64 v[13:14], v64 offset:23520
	s_waitcnt vmcnt(1)
	v_mul_f32_e32 v16, v42, v36
	v_mul_f32_e32 v23, v36, v41
	v_fma_f32 v22, v35, v41, -v16
	v_fmac_f32_e32 v23, v42, v35
	s_waitcnt vmcnt(0) lgkmcnt(0)
	v_mul_f32_e32 v16, v14, v38
	v_mul_f32_e32 v42, v13, v38
	v_fma_f32 v41, v13, v37, -v16
	v_fmac_f32_e32 v42, v14, v37
	v_sub_f32_e32 v13, v39, v74
	v_sub_f32_e32 v14, v40, v75
	v_fma_f32 v16, v39, 2.0, -v13
	v_fma_f32 v17, v40, 2.0, -v14
	s_barrier
	ds_write_b64 v20, v[16:17]
	ds_write_b64 v20, v[13:14] offset:3136
	v_mad_u32_u24 v13, v45, 56, v46
	v_sub_f32_e32 v18, v3, v76
	v_sub_f32_e32 v19, v4, v77
	v_mul_u32_u24_e32 v13, 0x70, v13
	v_fma_f32 v3, v3, 2.0, -v18
	v_fma_f32 v4, v4, 2.0, -v19
	v_add3_u32 v13, 0, v13, v65
	ds_write_b64 v13, v[3:4]
	ds_write_b64 v13, v[18:19] offset:3136
	v_mad_u32_u24 v3, v47, 56, v48
	v_sub_f32_e32 v22, v1, v22
	v_sub_f32_e32 v23, v2, v23
	v_mul_u32_u24_e32 v3, 0x70, v3
	v_fma_f32 v1, v1, 2.0, -v22
	v_fma_f32 v2, v2, 2.0, -v23
	v_add3_u32 v3, 0, v3, v65
	;; [unrolled: 9-line block ×7, first 2 shown]
	v_subrev_u32_e32 v11, 56, v60
	ds_write_b64 v1, v[7:8]
	ds_write_b64 v1, v[41:42] offset:3136
	v_cndmask_b32_e32 v1, v11, v60, vcc
	v_mov_b32_e32 v2, 0
	v_lshlrev_b64 v[3:4], 3, v[1:2]
	v_mov_b32_e32 v10, s19
	v_add_co_u32_e64 v6, s[2:3], s18, v3
	v_addc_co_u32_e64 v7, s[2:3], v10, v4, s[2:3]
	s_movk_i32 s2, 0x24c
	v_subrev_u32_e32 v5, 42, v60
	v_cmp_gt_u32_e64 s[2:3], s2, v0
	v_cndmask_b32_e64 v12, v5, v51, s[2:3]
	v_mov_b32_e32 v13, v2
	v_lshlrev_b64 v[3:4], 3, v[12:13]
	v_mov_b32_e32 v14, v2
	v_add_co_u32_e64 v8, s[6:7], s18, v3
	v_addc_co_u32_e64 v9, s[6:7], v10, v4, s[6:7]
	s_movk_i32 s6, 0x188
	v_subrev_u32_e32 v3, 28, v60
	v_cmp_gt_u32_e64 s[6:7], s6, v0
	v_cndmask_b32_e64 v13, v3, v53, s[6:7]
	v_mov_b32_e32 v31, 3
	v_lshlrev_b64 v[16:17], 3, v[13:14]
	v_lshrrev_b16_sdwa v4, v31, v62 dst_sel:DWORD dst_unused:UNUSED_PAD src0_sel:DWORD src1_sel:BYTE_0
	v_mul_lo_u16_e32 v4, 37, v4
	v_add_co_u32_e64 v16, s[8:9], s18, v16
	v_lshrrev_b16_e32 v4, 8, v4
	v_addc_co_u32_e64 v17, s[8:9], v10, v17, s[8:9]
	v_mul_lo_u16_e32 v10, 56, v4
	s_waitcnt lgkmcnt(0)
	s_barrier
	global_load_dwordx2 v[22:23], v[6:7], off offset:416
	v_sub_u16_e32 v6, v62, v10
	v_and_b32_e32 v20, 0xff, v6
	v_lshlrev_b32_e32 v6, 3, v20
	v_lshrrev_b16_e32 v66, 13, v59
	global_load_dwordx2 v[32:33], v[8:9], off offset:416
	global_load_dwordx2 v[34:35], v[16:17], off offset:416
	global_load_dwordx2 v[36:37], v6, s[18:19] offset:416
	v_mul_lo_u16_e32 v6, 56, v24
	v_mul_lo_u16_e32 v7, 56, v66
	v_sub_u16_e32 v6, v63, v6
	v_sub_u16_e32 v7, v26, v7
	v_and_b32_e32 v48, 0xff, v6
	v_and_b32_e32 v67, 0xff, v7
	v_lshlrev_b32_e32 v6, 3, v48
	v_lshlrev_b32_e32 v7, 3, v67
	v_mul_lo_u16_e32 v8, 56, v68
	global_load_dwordx2 v[38:39], v6, s[18:19] offset:416
	global_load_dwordx2 v[40:41], v7, s[18:19] offset:416
	v_lshrrev_b16_e32 v7, 3, v27
	v_sub_u16_e32 v6, v25, v8
	v_mul_lo_u16_e32 v7, 37, v7
	v_and_b32_e32 v69, 0xff, v6
	v_lshrrev_b16_e32 v70, 8, v7
	v_lshlrev_b32_e32 v6, 3, v69
	v_mul_lo_u16_e32 v7, 56, v70
	global_load_dwordx2 v[42:43], v6, s[18:19] offset:416
	v_sub_u16_e32 v6, v27, v7
	v_and_b32_e32 v71, 0xff, v6
	v_lshlrev_b32_e32 v6, 3, v71
	global_load_dwordx2 v[44:45], v6, s[18:19] offset:416
	ds_read2_b64 v[6:9], v28 offset0:32 offset1:228
	ds_read2_b64 v[16:19], v21 offset0:40 offset1:236
	ds_read_b64 v[46:47], v64
	ds_read_b64 v[54:55], v52
	;; [unrolled: 1-line block ×4, first 2 shown]
	v_add_u32_e32 v14, 0x4800, v64
	s_movk_i32 s8, 0x30f
	v_cmp_lt_u32_e64 s[8:9], s8, v0
	s_waitcnt vmcnt(7) lgkmcnt(5)
	v_mul_f32_e32 v10, v23, v7
	v_mul_f32_e32 v23, v23, v6
	v_fma_f32 v72, v22, v6, -v10
	v_fmac_f32_e32 v23, v22, v7
	s_waitcnt vmcnt(6)
	v_mul_f32_e32 v6, v33, v9
	v_mul_f32_e32 v75, v33, v8
	s_waitcnt vmcnt(5) lgkmcnt(4)
	v_mul_f32_e32 v22, v35, v17
	v_fma_f32 v74, v32, v8, -v6
	v_fmac_f32_e32 v75, v32, v9
	ds_read2_b64 v[7:10], v14 offset0:48 offset1:244
	v_add_u32_e32 v6, 0x5400, v64
	v_fma_f32 v76, v34, v16, -v22
	v_mul_f32_e32 v77, v35, v16
	s_waitcnt vmcnt(4)
	v_mul_f32_e32 v16, v37, v19
	v_mul_f32_e32 v79, v37, v18
	v_fmac_f32_e32 v77, v34, v17
	v_fma_f32 v78, v36, v18, -v16
	v_fmac_f32_e32 v79, v36, v19
	ds_read2_b64 v[16:19], v6 offset0:56 offset1:252
	s_waitcnt vmcnt(3) lgkmcnt(1)
	v_mul_f32_e32 v22, v8, v39
	v_fma_f32 v80, v7, v38, -v22
	v_sub_f32_e32 v23, v47, v23
	v_mul_f32_e32 v81, v7, v39
	s_waitcnt vmcnt(2)
	v_mul_f32_e32 v7, v10, v41
	s_waitcnt vmcnt(1) lgkmcnt(0)
	v_mul_f32_e32 v22, v17, v43
	v_fma_f32 v84, v16, v42, -v22
	v_mul_f32_e32 v85, v16, v43
	v_sub_f32_e32 v22, v46, v72
	s_waitcnt vmcnt(0)
	v_mul_f32_e32 v16, v19, v45
	v_mul_f32_e32 v87, v18, v45
	v_mov_b32_e32 v72, 0x70
	v_fmac_f32_e32 v85, v17, v42
	v_fma_f32 v86, v18, v44, -v16
	v_fmac_f32_e32 v87, v19, v44
	ds_read2_b64 v[16:19], v73 offset0:8 offset1:204
	v_cndmask_b32_e64 v73, 0, v72, s[8:9]
	v_add_u32_e32 v1, v1, v73
	v_mul_i32_i24_e32 v1, 0x70, v1
	s_movk_i32 s8, 0x24b
	v_mul_f32_e32 v83, v9, v41
	v_fma_f32 v32, v46, 2.0, -v22
	v_fma_f32 v33, v47, 2.0, -v23
	v_add3_u32 v1, 0, v1, v65
	v_cmp_lt_u32_e64 s[8:9], s8, v0
	v_fmac_f32_e32 v81, v8, v38
	v_fma_f32 v82, v9, v40, -v7
	v_fmac_f32_e32 v83, v10, v40
	ds_read2_b64 v[7:10], v15 offset1:196
	s_waitcnt lgkmcnt(0)
	s_barrier
	ds_write_b64 v1, v[32:33]
	ds_write_b64 v1, v[22:23] offset:6272
	v_cndmask_b32_e64 v1, 0, v72, s[8:9]
	v_add_u32_e32 v1, v12, v1
	v_sub_f32_e32 v34, v54, v74
	v_sub_f32_e32 v35, v55, v75
	v_mul_i32_i24_e32 v1, 0x70, v1
	s_movk_i32 s8, 0x187
	v_fma_f32 v36, v54, 2.0, -v34
	v_fma_f32 v37, v55, 2.0, -v35
	v_add3_u32 v1, 0, v1, v65
	v_cmp_lt_u32_e64 s[8:9], s8, v0
	ds_write_b64 v1, v[36:37]
	ds_write_b64 v1, v[34:35] offset:6272
	v_cndmask_b32_e64 v1, 0, v72, s[8:9]
	v_add_u32_e32 v1, v13, v1
	v_sub_f32_e32 v38, v56, v76
	v_sub_f32_e32 v39, v57, v77
	v_mul_i32_i24_e32 v1, 0x70, v1
	v_fma_f32 v40, v56, 2.0, -v38
	v_fma_f32 v41, v57, 2.0, -v39
	v_add3_u32 v1, 0, v1, v65
	ds_write_b64 v1, v[40:41]
	ds_write_b64 v1, v[38:39] offset:6272
	v_mad_u32_u24 v1, v4, s22, v20
	v_sub_f32_e32 v42, v58, v78
	v_sub_f32_e32 v43, v59, v79
	v_mul_u32_u24_e32 v1, 0x70, v1
	v_fma_f32 v44, v58, 2.0, -v42
	v_fma_f32 v45, v59, 2.0, -v43
	v_add3_u32 v1, 0, v1, v65
	ds_write_b64 v1, v[44:45]
	ds_write_b64 v1, v[42:43] offset:6272
	v_mad_u32_u24 v1, v24, s22, v48
	v_sub_f32_e32 v46, v7, v80
	v_sub_f32_e32 v47, v8, v81
	v_mul_u32_u24_e32 v1, 0x70, v1
	;; [unrolled: 9-line block ×4, first 2 shown]
	v_fma_f32 v16, v16, 2.0, -v56
	v_fma_f32 v17, v17, 2.0, -v57
	v_add3_u32 v1, 0, v1, v65
	ds_write_b64 v1, v[16:17]
	ds_write_b64 v1, v[56:57] offset:6272
	v_mad_u32_u24 v1, v70, s22, v71
	v_cmp_gt_u64_e64 s[8:9], s[20:21], v[49:50]
	v_sub_f32_e32 v58, v18, v86
	v_sub_f32_e32 v59, v19, v87
	v_mul_u32_u24_e32 v1, 0x70, v1
	v_fma_f32 v18, v18, 2.0, -v58
	v_fma_f32 v19, v19, 2.0, -v59
	v_add3_u32 v1, 0, v1, v65
	s_or_b64 s[0:1], s[0:1], s[8:9]
	ds_write_b64 v1, v[18:19]
	ds_write_b64 v1, v[58:59] offset:6272
	s_waitcnt lgkmcnt(0)
	s_barrier
	s_and_saveexec_b64 s[8:9], s[0:1]
	s_cbranch_execz .LBB0_20
; %bb.19:
	s_movk_i32 s0, 0xc4
	v_add_u32_e32 v1, -14, v60
	v_cmp_gt_u32_e64 s[0:1], s0, v0
	v_cndmask_b32_e64 v1, v1, v27, s[0:1]
	v_lshlrev_b64 v[7:8], 3, v[1:2]
	v_add_u32_e32 v4, 0x70, v1
	s_load_dwordx2 s[4:5], s[4:5], 0x8
	v_mul_lo_u32 v4, v49, v4
	v_mov_b32_e32 v33, s19
	v_add_co_u32_e64 v7, s[0:1], s18, v7
	v_mul_lo_u32 v9, v49, v1
	v_addc_co_u32_e64 v8, s[0:1], v33, v8, s[0:1]
	global_load_dwordx2 v[12:13], v[7:8], off offset:864
	v_lshlrev_b32_sdwa v7, v31, v4 dst_sel:DWORD dst_unused:UNUSED_PAD src0_sel:DWORD src1_sel:BYTE_0
	v_lshlrev_b32_sdwa v8, v31, v4 dst_sel:DWORD dst_unused:UNUSED_PAD src0_sel:DWORD src1_sel:BYTE_1
	v_mov_b32_e32 v32, 0x1000
	s_waitcnt lgkmcnt(0)
	global_load_dwordx2 v[22:23], v7, s[4:5]
	global_load_dwordx2 v[34:35], v8, s[4:5] offset:2048
	v_bfe_u32 v7, v9, 16, 8
	v_bfe_u32 v4, v4, 16, 8
	v_lshl_or_b32 v7, v7, 3, v32
	v_lshl_or_b32 v4, v4, 3, v32
	global_load_dwordx2 v[36:37], v7, s[4:5]
	global_load_dwordx2 v[38:39], v4, s[4:5]
	v_lshlrev_b32_sdwa v4, v31, v9 dst_sel:DWORD dst_unused:UNUSED_PAD src0_sel:DWORD src1_sel:BYTE_0
	v_lshlrev_b32_sdwa v7, v31, v9 dst_sel:DWORD dst_unused:UNUSED_PAD src0_sel:DWORD src1_sel:BYTE_1
	global_load_dwordx2 v[40:41], v4, s[4:5]
	global_load_dwordx2 v[42:43], v7, s[4:5] offset:2048
	v_cndmask_b32_e64 v3, v3, v25, s[6:7]
	v_mov_b32_e32 v4, v2
	v_lshlrev_b64 v[7:8], 3, v[3:4]
	v_add_u32_e32 v4, 0x70, v3
	v_add_co_u32_e64 v7, s[0:1], s18, v7
	v_addc_co_u32_e64 v8, s[0:1], v33, v8, s[0:1]
	global_load_dwordx2 v[44:45], v[7:8], off offset:864
	v_mul_lo_u32 v4, v49, v4
	v_mul_lo_u32 v9, v49, v3
	v_add_u32_e32 v20, 0xc40, v15
	v_add_u32_e32 v10, 0x620, v15
	v_lshlrev_b32_sdwa v7, v31, v4 dst_sel:DWORD dst_unused:UNUSED_PAD src0_sel:DWORD src1_sel:BYTE_0
	v_lshlrev_b32_sdwa v8, v31, v4 dst_sel:DWORD dst_unused:UNUSED_PAD src0_sel:DWORD src1_sel:BYTE_1
	global_load_dwordx2 v[46:47], v7, s[4:5]
	global_load_dwordx2 v[54:55], v8, s[4:5] offset:2048
	v_bfe_u32 v7, v9, 16, 8
	v_bfe_u32 v4, v4, 16, 8
	v_lshl_or_b32 v7, v7, 3, v32
	v_lshl_or_b32 v4, v4, 3, v32
	global_load_dwordx2 v[56:57], v7, s[4:5]
	global_load_dwordx2 v[58:59], v4, s[4:5]
	v_lshlrev_b32_sdwa v4, v31, v9 dst_sel:DWORD dst_unused:UNUSED_PAD src0_sel:DWORD src1_sel:BYTE_0
	v_lshlrev_b32_sdwa v7, v31, v9 dst_sel:DWORD dst_unused:UNUSED_PAD src0_sel:DWORD src1_sel:BYTE_1
	global_load_dwordx2 v[65:66], v4, s[4:5]
	global_load_dwordx2 v[67:68], v7, s[4:5] offset:2048
	v_add_u32_e32 v4, 0x1260, v15
	v_cndmask_b32_e64 v8, v5, v26, s[2:3]
	v_mov_b32_e32 v9, v2
	ds_read2_b64 v[16:19], v6 offset0:56 offset1:252
	ds_read_b64 v[6:7], v4
	v_lshlrev_b64 v[4:5], 3, v[8:9]
	v_add_u32_e32 v9, 0x70, v8
	v_mul_lo_u32 v9, v49, v9
	v_add_co_u32_e64 v4, s[0:1], s18, v4
	v_addc_co_u32_e64 v5, s[0:1], v33, v5, s[0:1]
	global_load_dwordx2 v[69:70], v[4:5], off offset:864
	v_bfe_u32 v4, v9, 16, 8
	v_lshl_or_b32 v4, v4, 3, v32
	v_lshlrev_b32_sdwa v5, v31, v9 dst_sel:DWORD dst_unused:UNUSED_PAD src0_sel:DWORD src1_sel:BYTE_0
	v_lshlrev_b32_sdwa v9, v31, v9 dst_sel:DWORD dst_unused:UNUSED_PAD src0_sel:DWORD src1_sel:BYTE_1
	global_load_dwordx2 v[71:72], v4, s[4:5]
	global_load_dwordx2 v[73:74], v5, s[4:5]
	global_load_dwordx2 v[75:76], v9, s[4:5] offset:2048
	s_movk_i32 s0, 0x3d4
	s_waitcnt vmcnt(17) lgkmcnt(1)
	v_mul_f32_e32 v4, v18, v13
	v_mul_f32_e32 v5, v19, v13
	v_fmac_f32_e32 v4, v19, v12
	v_fma_f32 v5, v18, v12, -v5
	s_waitcnt lgkmcnt(0)
	v_sub_f32_e32 v9, v7, v4
	s_waitcnt vmcnt(15)
	v_mul_f32_e32 v4, v23, v35
	v_sub_f32_e32 v12, v6, v5
	v_mul_f32_e32 v5, v22, v35
	v_fma_f32 v4, v22, v34, -v4
	v_fmac_f32_e32 v5, v23, v34
	s_waitcnt vmcnt(13)
	v_mul_f32_e32 v18, v4, v39
	v_mul_f32_e32 v13, v5, v39
	v_fmac_f32_e32 v18, v38, v5
	v_fma_f32 v4, v38, v4, -v13
	v_mul_f32_e32 v5, v12, v18
	v_mul_f32_e32 v13, v9, v18
	v_fmac_f32_e32 v5, v9, v4
	v_fma_f32 v9, v7, 2.0, -v9
	s_waitcnt vmcnt(11)
	v_mul_f32_e32 v7, v41, v43
	v_fma_f32 v4, v12, v4, -v13
	v_fma_f32 v7, v40, v42, -v7
	v_mul_f32_e32 v13, v40, v43
	v_fmac_f32_e32 v13, v41, v42
	v_fma_f32 v6, v6, 2.0, -v12
	v_mul_f32_e32 v12, v7, v37
	v_mul_f32_e32 v18, v13, v37
	v_fmac_f32_e32 v12, v36, v13
	v_fma_f32 v18, v36, v7, -v18
	v_mul_f32_e32 v7, v6, v12
	v_fmac_f32_e32 v7, v9, v18
	v_mul_f32_e32 v9, v9, v12
	ds_read_b64 v[12:13], v20
	ds_read_b64 v[22:23], v10
	v_mul_lo_u32 v19, v49, v8
	v_fma_f32 v6, v6, v18, -v9
	s_waitcnt vmcnt(10)
	v_mul_f32_e32 v9, v16, v45
	v_fmac_f32_e32 v9, v17, v44
	v_mul_f32_e32 v17, v17, v45
	v_lshlrev_b32_sdwa v24, v31, v19 dst_sel:DWORD dst_unused:UNUSED_PAD src0_sel:DWORD src1_sel:BYTE_0
	v_fma_f32 v16, v16, v44, -v17
	v_lshlrev_b32_sdwa v34, v31, v19 dst_sel:DWORD dst_unused:UNUSED_PAD src0_sel:DWORD src1_sel:BYTE_1
	global_load_dwordx2 v[38:39], v24, s[4:5]
	global_load_dwordx2 v[40:41], v34, s[4:5] offset:2048
	s_waitcnt lgkmcnt(1)
	v_sub_f32_e32 v24, v12, v16
	v_bfe_u32 v16, v19, 16, 8
	v_lshl_or_b32 v16, v16, 3, v32
	global_load_dwordx2 v[16:17], v16, s[4:5]
	s_waitcnt vmcnt(11)
	v_mul_f32_e32 v10, v46, v55
	v_sub_f32_e32 v18, v13, v9
	v_mul_f32_e32 v9, v47, v55
	v_fmac_f32_e32 v10, v47, v54
	v_fma_f32 v9, v46, v54, -v9
	s_waitcnt vmcnt(9)
	v_mul_f32_e32 v20, v10, v59
	v_fma_f32 v20, v58, v9, -v20
	v_mul_f32_e32 v9, v9, v59
	v_fmac_f32_e32 v9, v58, v10
	v_mul_f32_e32 v10, v24, v9
	v_mul_f32_e32 v9, v18, v9
	v_fmac_f32_e32 v10, v18, v20
	v_fma_f32 v9, v24, v20, -v9
	v_fma_f32 v20, v13, 2.0, -v18
	s_waitcnt vmcnt(7)
	v_mul_f32_e32 v18, v65, v68
	v_mul_f32_e32 v13, v66, v68
	v_fmac_f32_e32 v18, v66, v67
	v_fma_f32 v13, v65, v67, -v13
	v_mul_f32_e32 v19, v18, v57
	v_fma_f32 v48, v56, v13, -v19
	v_mul_f32_e32 v50, v13, v57
	v_cndmask_b32_e32 v13, v11, v63, vcc
	v_add_u32_e32 v11, 0x70, v13
	v_mul_lo_u32 v11, v49, v11
	ds_read2_b64 v[34:37], v14 offset0:48 offset1:244
	v_mov_b32_e32 v14, v2
	v_fmac_f32_e32 v50, v56, v18
	v_lshlrev_b64 v[18:19], 3, v[13:14]
	v_bfe_u32 v14, v11, 16, 8
	v_lshl_or_b32 v14, v14, 3, v32
	v_fma_f32 v24, v12, 2.0, -v24
	v_lshlrev_b32_sdwa v54, v31, v11 dst_sel:DWORD dst_unused:UNUSED_PAD src0_sel:DWORD src1_sel:BYTE_0
	v_lshlrev_b32_sdwa v11, v31, v11 dst_sel:DWORD dst_unused:UNUSED_PAD src0_sel:DWORD src1_sel:BYTE_1
	global_load_dwordx2 v[42:43], v14, s[4:5]
	global_load_dwordx2 v[44:45], v54, s[4:5]
	global_load_dwordx2 v[46:47], v11, s[4:5] offset:2048
	v_add_co_u32_e32 v18, vcc, s18, v18
	s_waitcnt vmcnt(9) lgkmcnt(0)
	v_mul_f32_e32 v14, v36, v70
	v_mul_f32_e32 v12, v24, v50
	v_addc_co_u32_e32 v19, vcc, v33, v19, vcc
	v_fmac_f32_e32 v14, v37, v69
	v_fmac_f32_e32 v12, v20, v48
	global_load_dwordx2 v[54:55], v[18:19], off offset:864
	v_mul_f32_e32 v11, v20, v50
	v_sub_f32_e32 v20, v23, v14
	s_waitcnt vmcnt(7)
	v_mul_f32_e32 v14, v74, v76
	v_fma_f32 v11, v24, v48, -v11
	v_fma_f32 v24, v73, v75, -v14
	v_mul_lo_u32 v14, v49, v13
	ds_read_b64 v[56:57], v15
	v_cmp_gt_u32_e32 vcc, s0, v0
	v_mov_b32_e32 v19, v2
	v_lshlrev_b32_sdwa v15, v31, v14 dst_sel:DWORD dst_unused:UNUSED_PAD src0_sel:DWORD src1_sel:BYTE_0
	v_lshlrev_b32_sdwa v18, v31, v14 dst_sel:DWORD dst_unused:UNUSED_PAD src0_sel:DWORD src1_sel:BYTE_1
	global_load_dwordx2 v[58:59], v15, s[4:5]
	global_load_dwordx2 v[65:66], v18, s[4:5] offset:2048
	v_bfe_u32 v14, v14, 16, 8
	v_lshl_or_b32 v14, v14, 3, v32
	global_load_dwordx2 v[67:68], v14, s[4:5]
	v_add_u32_e32 v14, 0xffffffba, v60
	v_cndmask_b32_e32 v18, v14, v62, vcc
	v_lshlrev_b64 v[14:15], 3, v[18:19]
	v_mul_f32_e32 v48, v73, v76
	v_add_co_u32_e32 v14, vcc, s18, v14
	v_addc_co_u32_e32 v15, vcc, v33, v15, vcc
	v_fmac_f32_e32 v48, v74, v75
	global_load_dwordx2 v[73:74], v[14:15], off offset:864
	v_mul_f32_e32 v14, v37, v70
	v_fma_f32 v14, v36, v69, -v14
	v_sub_f32_e32 v19, v22, v14
	v_mul_f32_e32 v14, v24, v72
	v_mul_f32_e32 v50, v48, v72
	v_fmac_f32_e32 v14, v71, v48
	v_add_u32_e32 v36, 0x70, v18
	v_fma_f32 v0, v71, v24, -v50
	v_mul_f32_e32 v15, v19, v14
	s_waitcnt vmcnt(9)
	v_mul_f32_e32 v24, v39, v41
	v_mul_lo_u32 v36, v49, v36
	v_mul_f32_e32 v14, v20, v14
	v_fmac_f32_e32 v15, v20, v0
	v_fma_f32 v24, v38, v40, -v24
	v_mul_f32_e32 v37, v38, v41
	v_fma_f32 v14, v19, v0, -v14
	v_fma_f32 v0, v23, 2.0, -v20
	v_mul_lo_u32 v23, v49, v18
	v_fmac_f32_e32 v37, v39, v40
	v_fma_f32 v19, v22, 2.0, -v19
	s_waitcnt vmcnt(8)
	v_mul_f32_e32 v22, v24, v17
	v_mul_f32_e32 v20, v37, v17
	v_fmac_f32_e32 v22, v16, v37
	v_bfe_u32 v38, v36, 16, 8
	v_fma_f32 v20, v16, v24, -v20
	v_mul_f32_e32 v16, v0, v22
	v_lshl_or_b32 v48, v38, 3, v32
	v_mul_f32_e32 v17, v19, v22
	v_fma_f32 v16, v19, v20, -v16
	v_lshlrev_b32_sdwa v19, v31, v23 dst_sel:DWORD dst_unused:UNUSED_PAD src0_sel:DWORD src1_sel:BYTE_0
	v_lshlrev_b32_sdwa v50, v31, v36 dst_sel:DWORD dst_unused:UNUSED_PAD src0_sel:DWORD src1_sel:BYTE_0
	v_lshlrev_b32_sdwa v36, v31, v36 dst_sel:DWORD dst_unused:UNUSED_PAD src0_sel:DWORD src1_sel:BYTE_1
	global_load_dwordx2 v[38:39], v48, s[4:5]
	global_load_dwordx2 v[40:41], v50, s[4:5]
	global_load_dwordx2 v[69:70], v36, s[4:5] offset:2048
	v_lshlrev_b32_sdwa v22, v31, v23 dst_sel:DWORD dst_unused:UNUSED_PAD src0_sel:DWORD src1_sel:BYTE_1
	global_load_dwordx2 v[71:72], v19, s[4:5]
	global_load_dwordx2 v[75:76], v22, s[4:5] offset:2048
	v_bfe_u32 v19, v23, 16, 8
	v_lshl_or_b32 v19, v19, 3, v32
	global_load_dwordx2 v[77:78], v19, s[4:5]
	v_fmac_f32_e32 v17, v0, v20
	v_add_u32_e32 v50, 0x8c, v60
	s_waitcnt vmcnt(11)
	v_mul_f32_e32 v19, v44, v47
	v_mul_f32_e32 v0, v45, v47
	v_fmac_f32_e32 v19, v45, v46
	v_fma_f32 v0, v44, v46, -v0
	v_mul_f32_e32 v23, v19, v43
	v_fma_f32 v23, v42, v0, -v23
	v_mul_f32_e32 v0, v0, v43
	v_fmac_f32_e32 v0, v42, v19
	ds_read_b64 v[44:45], v30
	s_waitcnt vmcnt(10)
	v_mul_f32_e32 v20, v34, v55
	v_fmac_f32_e32 v20, v35, v54
	s_waitcnt lgkmcnt(1)
	v_sub_f32_e32 v22, v57, v20
	v_mul_f32_e32 v20, v35, v55
	v_fma_f32 v20, v34, v54, -v20
	v_sub_f32_e32 v24, v56, v20
	v_mul_f32_e32 v20, v24, v0
	v_mul_f32_e32 v0, v22, v0
	v_fmac_f32_e32 v20, v22, v23
	v_fma_f32 v19, v24, v23, -v0
	v_fma_f32 v0, v57, 2.0, -v22
	v_fma_f32 v24, v56, 2.0, -v24
	s_waitcnt vmcnt(8)
	v_mul_f32_e32 v22, v59, v66
	v_fma_f32 v22, v58, v65, -v22
	v_mul_f32_e32 v23, v58, v66
	v_fmac_f32_e32 v23, v59, v65
	s_waitcnt vmcnt(7)
	v_mul_f32_e32 v43, v22, v68
	v_mul_f32_e32 v34, v23, v68
	v_fmac_f32_e32 v43, v67, v23
	v_fma_f32 v42, v67, v22, -v34
	v_mul_f32_e32 v22, v24, v43
	v_fmac_f32_e32 v22, v0, v42
	v_mul_f32_e32 v0, v0, v43
	ds_read2_b64 v[34:37], v21 offset0:40 offset1:236
	v_fma_f32 v21, v24, v42, -v0
	v_mul_lo_u32 v42, v49, v50
	v_mov_b32_e32 v54, v2
	v_lshlrev_b64 v[23:24], 3, v[53:54]
	s_waitcnt vmcnt(6) lgkmcnt(0)
	v_mul_f32_e32 v0, v74, v36
	v_bfe_u32 v43, v42, 16, 8
	v_lshl_or_b32 v48, v43, 3, v32
	v_lshlrev_b32_sdwa v56, v31, v42 dst_sel:DWORD dst_unused:UNUSED_PAD src0_sel:DWORD src1_sel:BYTE_0
	v_lshlrev_b32_sdwa v57, v31, v42 dst_sel:DWORD dst_unused:UNUSED_PAD src0_sel:DWORD src1_sel:BYTE_1
	global_load_dwordx2 v[42:43], v48, s[4:5]
	global_load_dwordx2 v[46:47], v56, s[4:5]
	global_load_dwordx2 v[54:55], v57, s[4:5] offset:2048
	v_add_co_u32_e32 v23, vcc, s18, v23
	v_addc_co_u32_e32 v24, vcc, v33, v24, vcc
	global_load_dwordx2 v[56:57], v[23:24], off offset:864
	v_fmac_f32_e32 v0, v73, v37
	v_mul_f32_e32 v37, v74, v37
	v_fma_f32 v36, v73, v36, -v37
	v_sub_f32_e32 v44, v44, v36
	v_sub_f32_e32 v0, v45, v0
	v_add_u32_e32 v74, 0x7e, v60
	v_mul_lo_u32 v67, v49, v74
	s_waitcnt vmcnt(7)
	v_mul_f32_e32 v24, v40, v70
	v_mul_f32_e32 v23, v41, v70
	s_waitcnt vmcnt(5)
	v_mul_f32_e32 v36, v72, v76
	v_fmac_f32_e32 v24, v41, v69
	v_fma_f32 v48, v71, v75, -v36
	v_mul_lo_u32 v36, v49, v53
	v_fma_f32 v23, v40, v69, -v23
	v_mul_f32_e32 v40, v24, v39
	v_fma_f32 v40, v38, v23, -v40
	v_mul_f32_e32 v23, v23, v39
	v_fmac_f32_e32 v23, v38, v24
	v_mul_f32_e32 v24, v44, v23
	v_mul_f32_e32 v23, v0, v23
	v_lshlrev_b32_sdwa v41, v31, v36 dst_sel:DWORD dst_unused:UNUSED_PAD src0_sel:DWORD src1_sel:BYTE_0
	v_fmac_f32_e32 v24, v0, v40
	v_fma_f32 v23, v44, v40, -v23
	v_mul_f32_e32 v58, v71, v76
	v_bfe_u32 v40, v36, 16, 8
	v_lshlrev_b32_sdwa v65, v31, v36 dst_sel:DWORD dst_unused:UNUSED_PAD src0_sel:DWORD src1_sel:BYTE_1
	global_load_dwordx2 v[36:37], v41, s[4:5]
	global_load_dwordx2 v[38:39], v65, s[4:5] offset:2048
	v_fmac_f32_e32 v58, v72, v75
	v_lshl_or_b32 v40, v40, 3, v32
	s_waitcnt vmcnt(6)
	v_mul_f32_e32 v59, v58, v78
	global_load_dwordx2 v[40:41], v40, s[4:5]
	v_fma_f32 v68, v77, v48, -v59
	v_mul_f32_e32 v48, v48, v78
	v_lshlrev_b32_sdwa v69, v31, v67 dst_sel:DWORD dst_unused:UNUSED_PAD src0_sel:DWORD src1_sel:BYTE_0
	v_fmac_f32_e32 v48, v77, v58
	v_lshlrev_b32_sdwa v70, v31, v67 dst_sel:DWORD dst_unused:UNUSED_PAD src0_sel:DWORD src1_sel:BYTE_1
	global_load_dwordx2 v[58:59], v69, s[4:5]
	global_load_dwordx2 v[65:66], v70, s[4:5] offset:2048
	ds_read_b32 v69, v30
	v_fma_f32 v0, v45, 2.0, -v0
	ds_read_b64 v[29:30], v29
	v_add_u32_e32 v75, 0x70, v60
	s_waitcnt lgkmcnt(1)
	v_fma_f32 v44, v69, 2.0, -v44
	v_mul_f32_e32 v45, v44, v48
	v_fmac_f32_e32 v45, v0, v68
	v_mul_f32_e32 v0, v0, v48
	v_bfe_u32 v48, v67, 16, 8
	v_mul_lo_u32 v67, v49, v51
	v_fma_f32 v44, v44, v68, -v0
	v_lshl_or_b32 v48, v48, 3, v32
	s_waitcnt vmcnt(6)
	v_mul_f32_e32 v0, v47, v55
	v_fma_f32 v0, v46, v54, -v0
	v_mul_f32_e32 v68, v46, v55
	v_bfe_u32 v46, v67, 16, 8
	v_lshl_or_b32 v69, v46, 3, v32
	v_fmac_f32_e32 v68, v47, v54
	global_load_dwordx2 v[46:47], v69, s[4:5]
	global_load_dwordx2 v[54:55], v48, s[4:5]
	s_waitcnt vmcnt(7)
	v_mul_f32_e32 v48, v57, v34
	v_fmac_f32_e32 v48, v56, v35
	v_mul_f32_e32 v35, v57, v35
	s_waitcnt lgkmcnt(0)
	v_sub_f32_e32 v72, v30, v48
	v_mul_f32_e32 v48, v68, v43
	v_fma_f32 v56, v56, v34, -v35
	ds_read_b64 v[34:35], v52
	v_fma_f32 v48, v42, v0, -v48
	v_mul_f32_e32 v0, v0, v43
	v_lshlrev_b32_sdwa v52, v31, v67 dst_sel:DWORD dst_unused:UNUSED_PAD src0_sel:DWORD src1_sel:BYTE_0
	v_sub_f32_e32 v73, v29, v56
	v_fmac_f32_e32 v0, v42, v68
	v_lshlrev_b32_sdwa v67, v31, v67 dst_sel:DWORD dst_unused:UNUSED_PAD src0_sel:DWORD src1_sel:BYTE_1
	global_load_dwordx2 v[42:43], v52, s[4:5]
	global_load_dwordx2 v[56:57], v67, s[4:5] offset:2048
	v_mov_b32_e32 v52, v2
	v_lshlrev_b64 v[67:68], 3, v[51:52]
	v_mul_f32_e32 v69, v73, v0
	v_add_co_u32_e32 v67, vcc, s18, v67
	v_addc_co_u32_e32 v68, vcc, v33, v68, vcc
	global_load_dwordx2 v[70:71], v[67:68], off offset:864
	v_mul_f32_e32 v0, v72, v0
	v_fma_f32 v68, v73, v48, -v0
	v_fmac_f32_e32 v69, v72, v48
	v_fma_f32 v30, v30, 2.0, -v72
	v_fma_f32 v29, v29, 2.0, -v73
	s_waitcnt vmcnt(8)
	v_mul_f32_e32 v2, v36, v39
	v_mul_f32_e32 v0, v37, v39
	v_fmac_f32_e32 v2, v37, v38
	v_fma_f32 v0, v36, v38, -v0
	s_waitcnt vmcnt(7)
	v_mul_f32_e32 v33, v2, v41
	v_fma_f32 v52, v40, v0, -v33
	v_mul_f32_e32 v0, v0, v41
	v_mul_lo_u32 v33, v49, v75
	v_fmac_f32_e32 v0, v40, v2
	v_lshlrev_b32_e32 v36, 3, v60
	s_waitcnt vmcnt(5)
	v_mul_f32_e32 v2, v59, v66
	v_mul_f32_e32 v67, v58, v66
	v_fma_f32 v2, v58, v65, -v2
	v_fmac_f32_e32 v67, v59, v65
	v_mul_lo_u32 v65, v49, v60
	v_lshlrev_b32_sdwa v58, v31, v33 dst_sel:DWORD dst_unused:UNUSED_PAD src0_sel:DWORD src1_sel:BYTE_0
	global_load_dwordx2 v[36:37], v36, s[18:19] offset:864
	v_lshlrev_b32_sdwa v59, v31, v33 dst_sel:DWORD dst_unused:UNUSED_PAD src0_sel:DWORD src1_sel:BYTE_1
	v_bfe_u32 v33, v33, 16, 8
	global_load_dwordx2 v[38:39], v58, s[4:5]
	global_load_dwordx2 v[40:41], v59, s[4:5] offset:2048
	v_lshl_or_b32 v66, v33, 3, v32
	v_bfe_u32 v33, v65, 16, 8
	v_lshl_or_b32 v58, v33, 3, v32
	global_load_dwordx2 v[32:33], v58, s[4:5]
	global_load_dwordx2 v[48:49], v66, s[4:5]
	v_mul_f32_e32 v59, v29, v0
	v_mul_f32_e32 v0, v30, v0
	v_fma_f32 v58, v29, v52, -v0
	v_lshlrev_b32_sdwa v0, v31, v65 dst_sel:DWORD dst_unused:UNUSED_PAD src0_sel:DWORD src1_sel:BYTE_0
	v_lshlrev_b32_sdwa v29, v31, v65 dst_sel:DWORD dst_unused:UNUSED_PAD src0_sel:DWORD src1_sel:BYTE_1
	global_load_dwordx2 v[65:66], v0, s[4:5]
	global_load_dwordx2 v[72:73], v29, s[4:5] offset:2048
	v_fmac_f32_e32 v59, v30, v52
	ds_read2_b64 v[28:31], v28 offset0:32 offset1:228
	s_waitcnt vmcnt(8)
	v_mul_f32_e32 v0, v43, v57
	v_fma_f32 v0, v42, v56, -v0
	v_mul_f32_e32 v52, v42, v57
	v_mul_f32_e32 v42, v67, v55
	v_fmac_f32_e32 v52, v43, v56
	v_fma_f32 v56, v54, v2, -v42
	v_mul_f32_e32 v2, v2, v55
	v_fmac_f32_e32 v2, v54, v67
	s_waitcnt vmcnt(7) lgkmcnt(0)
	v_mul_f32_e32 v54, v71, v30
	v_fmac_f32_e32 v54, v70, v31
	v_mul_f32_e32 v31, v71, v31
	v_fma_f32 v30, v70, v30, -v31
	v_sub_f32_e32 v54, v35, v54
	v_sub_f32_e32 v55, v34, v30
	v_mul_f32_e32 v31, v55, v2
	v_mul_f32_e32 v2, v54, v2
	v_fma_f32 v30, v55, v56, -v2
	v_fma_f32 v2, v35, 2.0, -v54
	v_mul_f32_e32 v35, v52, v47
	v_fmac_f32_e32 v31, v54, v56
	v_fma_f32 v54, v46, v0, -v35
	v_mul_f32_e32 v0, v0, v47
	v_fma_f32 v34, v34, 2.0, -v55
	v_fmac_f32_e32 v0, v46, v52
	v_mul_f32_e32 v35, v34, v0
	ds_read_b64 v[42:43], v64
	v_fmac_f32_e32 v35, v2, v54
	v_mul_f32_e32 v0, v2, v0
	v_fma_f32 v34, v34, v54, -v0
	s_waitcnt vmcnt(6)
	v_mul_f32_e32 v0, v37, v28
	v_fmac_f32_e32 v0, v36, v29
	v_mul_f32_e32 v29, v37, v29
	s_waitcnt vmcnt(4)
	v_mul_f32_e32 v2, v39, v41
	v_fma_f32 v2, v38, v40, -v2
	v_mul_f32_e32 v38, v38, v41
	v_fmac_f32_e32 v38, v39, v40
	s_waitcnt vmcnt(2)
	v_mul_f32_e32 v39, v38, v49
	v_fma_f32 v39, v48, v2, -v39
	v_fma_f32 v28, v36, v28, -v29
	v_mul_f32_e32 v2, v2, v49
	s_waitcnt lgkmcnt(0)
	v_sub_f32_e32 v0, v43, v0
	v_sub_f32_e32 v36, v42, v28
	v_fmac_f32_e32 v2, v48, v38
	v_mul_f32_e32 v29, v36, v2
	v_mul_f32_e32 v2, v0, v2
	v_fmac_f32_e32 v29, v0, v39
	v_fma_f32 v28, v36, v39, -v2
	v_fma_f32 v2, v43, 2.0, -v0
	s_waitcnt vmcnt(0)
	v_mul_f32_e32 v0, v66, v73
	v_fma_f32 v0, v65, v72, -v0
	v_mul_f32_e32 v37, v65, v73
	v_fmac_f32_e32 v37, v66, v72
	v_mul_f32_e32 v47, v0, v33
	v_mul_f32_e32 v38, v37, v33
	v_fma_f32 v46, v42, 2.0, -v36
	v_fmac_f32_e32 v47, v32, v37
	v_mad_u64_u32 v[36:37], s[0:1], s12, v61, 0
	v_fma_f32 v43, v32, v0, -v38
	v_mad_u64_u32 v[38:39], s[0:1], s10, v60, 0
	v_mov_b32_e32 v0, v37
	v_mad_u64_u32 v[40:41], s[0:1], s13, v61, v[0:1]
	v_mov_b32_e32 v0, v39
	;; [unrolled: 2-line block ×3, first 2 shown]
	s_lshl_b64 s[0:1], s[16:17], 3
	s_add_u32 s2, s14, s0
	v_lshlrev_b64 v[36:37], 3, v[36:37]
	v_mul_f32_e32 v0, v2, v47
	s_addc_u32 s0, s15, s1
	v_mul_f32_e32 v33, v46, v47
	v_fma_f32 v32, v46, v43, -v0
	v_mov_b32_e32 v39, v41
	v_mov_b32_e32 v0, s0
	v_add_co_u32_e32 v42, vcc, s2, v36
	v_fmac_f32_e32 v33, v2, v43
	v_mad_u64_u32 v[40:41], s[0:1], s10, v75, 0
	v_addc_co_u32_e32 v43, vcc, v0, v37, vcc
	v_lshlrev_b64 v[36:37], 3, v[38:39]
	v_mov_b32_e32 v0, v41
	v_add_co_u32_e32 v36, vcc, v42, v36
	v_addc_co_u32_e32 v37, vcc, v43, v37, vcc
	global_store_dwordx2 v[36:37], v[32:33], off
	v_mad_u64_u32 v[36:37], s[0:1], s10, v51, 0
	v_mad_u64_u32 v[38:39], s[0:1], s11, v75, v[0:1]
	v_mov_b32_e32 v0, v37
	v_mov_b32_e32 v41, v38
	v_mad_u64_u32 v[37:38], s[0:1], s11, v51, v[0:1]
	v_mad_u64_u32 v[38:39], s[0:1], s10, v74, 0
	v_lshlrev_b64 v[32:33], 3, v[40:41]
	v_add_co_u32_e32 v32, vcc, v42, v32
	v_addc_co_u32_e32 v33, vcc, v43, v33, vcc
	v_mov_b32_e32 v0, v39
	global_store_dwordx2 v[32:33], v[28:29], off
	v_mad_u64_u32 v[32:33], s[0:1], s11, v74, v[0:1]
	v_lshlrev_b64 v[28:29], 3, v[36:37]
	v_mov_b32_e32 v39, v32
	v_mad_u64_u32 v[32:33], s[0:1], s10, v53, 0
	v_add_co_u32_e32 v28, vcc, v42, v28
	v_addc_co_u32_e32 v29, vcc, v43, v29, vcc
	v_mov_b32_e32 v0, v33
	global_store_dwordx2 v[28:29], v[34:35], off
	v_mad_u64_u32 v[33:34], s[0:1], s11, v53, v[0:1]
	v_mad_u64_u32 v[34:35], s[0:1], s10, v50, 0
	v_lshlrev_b64 v[28:29], 3, v[38:39]
	v_add_co_u32_e32 v28, vcc, v42, v28
	v_addc_co_u32_e32 v29, vcc, v43, v29, vcc
	v_mov_b32_e32 v0, v35
	global_store_dwordx2 v[28:29], v[30:31], off
	v_mad_u64_u32 v[30:31], s[0:1], s11, v50, v[0:1]
	v_sub_u32_e32 v0, v62, v18
	v_add_u32_e32 v2, v0, v62
	v_mov_b32_e32 v35, v30
	v_mad_u64_u32 v[30:31], s[0:1], s10, v2, 0
	v_lshlrev_b64 v[28:29], 3, v[32:33]
	v_mov_b32_e32 v0, v31
	v_add_co_u32_e32 v28, vcc, v42, v28
	v_mad_u64_u32 v[31:32], s[0:1], s11, v2, v[0:1]
	v_add_u32_e32 v2, 0x70, v2
	v_addc_co_u32_e32 v29, vcc, v43, v29, vcc
	v_mad_u64_u32 v[32:33], s[0:1], s10, v2, 0
	global_store_dwordx2 v[28:29], v[58:59], off
	v_lshlrev_b64 v[28:29], 3, v[34:35]
	v_mov_b32_e32 v0, v33
	v_add_co_u32_e32 v28, vcc, v42, v28
	v_addc_co_u32_e32 v29, vcc, v43, v29, vcc
	global_store_dwordx2 v[28:29], v[68:69], off
	v_lshlrev_b64 v[28:29], 3, v[30:31]
	v_mad_u64_u32 v[30:31], s[0:1], s11, v2, v[0:1]
	v_sub_u32_e32 v0, v63, v13
	v_add_u32_e32 v2, v0, v63
	v_mov_b32_e32 v33, v30
	v_mad_u64_u32 v[30:31], s[0:1], s10, v2, 0
	v_add_co_u32_e32 v28, vcc, v42, v28
	v_addc_co_u32_e32 v29, vcc, v43, v29, vcc
	v_mov_b32_e32 v0, v31
	global_store_dwordx2 v[28:29], v[44:45], off
	v_lshlrev_b64 v[28:29], 3, v[32:33]
	v_mad_u64_u32 v[31:32], s[0:1], s11, v2, v[0:1]
	v_add_u32_e32 v2, 0x70, v2
	v_mad_u64_u32 v[32:33], s[0:1], s10, v2, 0
	v_add_co_u32_e32 v28, vcc, v42, v28
	v_addc_co_u32_e32 v29, vcc, v43, v29, vcc
	global_store_dwordx2 v[28:29], v[23:24], off
	v_lshlrev_b64 v[23:24], 3, v[30:31]
	v_mov_b32_e32 v0, v33
	v_mad_u64_u32 v[28:29], s[0:1], s11, v2, v[0:1]
	v_add_co_u32_e32 v23, vcc, v42, v23
	v_sub_u32_e32 v0, v26, v8
	v_addc_co_u32_e32 v24, vcc, v43, v24, vcc
	v_add_u32_e32 v2, v0, v26
	global_store_dwordx2 v[23:24], v[21:22], off
	v_mad_u64_u32 v[23:24], s[0:1], s10, v2, 0
	v_mov_b32_e32 v33, v28
	v_lshlrev_b64 v[21:22], 3, v[32:33]
	v_mov_b32_e32 v0, v24
	v_mad_u64_u32 v[28:29], s[0:1], s11, v2, v[0:1]
	v_add_u32_e32 v2, 0x70, v2
	v_mad_u64_u32 v[29:30], s[0:1], s10, v2, 0
	v_add_co_u32_e32 v21, vcc, v42, v21
	v_addc_co_u32_e32 v22, vcc, v43, v22, vcc
	v_mov_b32_e32 v0, v30
	global_store_dwordx2 v[21:22], v[19:20], off
	v_mad_u64_u32 v[20:21], s[0:1], s11, v2, v[0:1]
	v_sub_u32_e32 v0, v25, v3
	v_add_u32_e32 v8, v0, v25
	v_mov_b32_e32 v24, v28
	v_mad_u64_u32 v[2:3], s[0:1], s10, v8, 0
	v_lshlrev_b64 v[18:19], 3, v[23:24]
	v_mov_b32_e32 v30, v20
	v_add_co_u32_e32 v18, vcc, v42, v18
	v_addc_co_u32_e32 v19, vcc, v43, v19, vcc
	v_mov_b32_e32 v0, v3
	global_store_dwordx2 v[18:19], v[16:17], off
	v_mad_u64_u32 v[18:19], s[0:1], s11, v8, v[0:1]
	v_add_u32_e32 v8, 0x70, v8
	v_mad_u64_u32 v[19:20], s[0:1], s10, v8, 0
	v_lshlrev_b64 v[16:17], 3, v[29:30]
	v_mov_b32_e32 v3, v18
	v_add_co_u32_e32 v16, vcc, v42, v16
	v_addc_co_u32_e32 v17, vcc, v43, v17, vcc
	v_mov_b32_e32 v0, v20
	global_store_dwordx2 v[16:17], v[14:15], off
	v_mad_u64_u32 v[13:14], s[0:1], s11, v8, v[0:1]
	v_lshlrev_b64 v[2:3], 3, v[2:3]
	v_sub_u32_e32 v0, v27, v1
	v_add_co_u32_e32 v2, vcc, v42, v2
	v_add_u32_e32 v8, v0, v27
	v_addc_co_u32_e32 v3, vcc, v43, v3, vcc
	v_mov_b32_e32 v20, v13
	v_mad_u64_u32 v[0:1], s[0:1], s10, v8, 0
	global_store_dwordx2 v[2:3], v[11:12], off
	v_lshlrev_b64 v[2:3], 3, v[19:20]
	v_add_co_u32_e32 v2, vcc, v42, v2
	v_mad_u64_u32 v[11:12], s[0:1], s11, v8, v[1:2]
	v_add_u32_e32 v8, 0x70, v8
	v_mad_u64_u32 v[12:13], s[0:1], s10, v8, 0
	v_addc_co_u32_e32 v3, vcc, v43, v3, vcc
	global_store_dwordx2 v[2:3], v[9:10], off
	v_mov_b32_e32 v2, v13
	v_mov_b32_e32 v1, v11
	v_mad_u64_u32 v[2:3], s[0:1], s11, v8, v[2:3]
	v_lshlrev_b64 v[0:1], 3, v[0:1]
	v_add_co_u32_e32 v0, vcc, v42, v0
	v_addc_co_u32_e32 v1, vcc, v43, v1, vcc
	v_mov_b32_e32 v13, v2
	global_store_dwordx2 v[0:1], v[6:7], off
	v_lshlrev_b64 v[0:1], 3, v[12:13]
	v_add_co_u32_e32 v0, vcc, v42, v0
	v_addc_co_u32_e32 v1, vcc, v43, v1, vcc
	global_store_dwordx2 v[0:1], v[4:5], off
.LBB0_20:
	s_endpgm
	.section	.rodata,"a",@progbits
	.p2align	6, 0x0
	.amdhsa_kernel fft_rtc_fwd_len224_factors_4_7_2_2_2_wgs_196_tpt_14_dim3_sp_ip_CI_sbcc_twdbase8_3step_dirReg
		.amdhsa_group_segment_fixed_size 0
		.amdhsa_private_segment_fixed_size 0
		.amdhsa_kernarg_size 88
		.amdhsa_user_sgpr_count 6
		.amdhsa_user_sgpr_private_segment_buffer 1
		.amdhsa_user_sgpr_dispatch_ptr 0
		.amdhsa_user_sgpr_queue_ptr 0
		.amdhsa_user_sgpr_kernarg_segment_ptr 1
		.amdhsa_user_sgpr_dispatch_id 0
		.amdhsa_user_sgpr_flat_scratch_init 0
		.amdhsa_user_sgpr_private_segment_size 0
		.amdhsa_uses_dynamic_stack 0
		.amdhsa_system_sgpr_private_segment_wavefront_offset 0
		.amdhsa_system_sgpr_workgroup_id_x 1
		.amdhsa_system_sgpr_workgroup_id_y 0
		.amdhsa_system_sgpr_workgroup_id_z 0
		.amdhsa_system_sgpr_workgroup_info 0
		.amdhsa_system_vgpr_workitem_id 0
		.amdhsa_next_free_vgpr 88
		.amdhsa_next_free_sgpr 26
		.amdhsa_reserve_vcc 1
		.amdhsa_reserve_flat_scratch 0
		.amdhsa_float_round_mode_32 0
		.amdhsa_float_round_mode_16_64 0
		.amdhsa_float_denorm_mode_32 3
		.amdhsa_float_denorm_mode_16_64 3
		.amdhsa_dx10_clamp 1
		.amdhsa_ieee_mode 1
		.amdhsa_fp16_overflow 0
		.amdhsa_exception_fp_ieee_invalid_op 0
		.amdhsa_exception_fp_denorm_src 0
		.amdhsa_exception_fp_ieee_div_zero 0
		.amdhsa_exception_fp_ieee_overflow 0
		.amdhsa_exception_fp_ieee_underflow 0
		.amdhsa_exception_fp_ieee_inexact 0
		.amdhsa_exception_int_div_zero 0
	.end_amdhsa_kernel
	.text
.Lfunc_end0:
	.size	fft_rtc_fwd_len224_factors_4_7_2_2_2_wgs_196_tpt_14_dim3_sp_ip_CI_sbcc_twdbase8_3step_dirReg, .Lfunc_end0-fft_rtc_fwd_len224_factors_4_7_2_2_2_wgs_196_tpt_14_dim3_sp_ip_CI_sbcc_twdbase8_3step_dirReg
                                        ; -- End function
	.section	.AMDGPU.csdata,"",@progbits
; Kernel info:
; codeLenInByte = 11988
; NumSgprs: 30
; NumVgprs: 88
; ScratchSize: 0
; MemoryBound: 0
; FloatMode: 240
; IeeeMode: 1
; LDSByteSize: 0 bytes/workgroup (compile time only)
; SGPRBlocks: 3
; VGPRBlocks: 21
; NumSGPRsForWavesPerEU: 30
; NumVGPRsForWavesPerEU: 88
; Occupancy: 2
; WaveLimiterHint : 1
; COMPUTE_PGM_RSRC2:SCRATCH_EN: 0
; COMPUTE_PGM_RSRC2:USER_SGPR: 6
; COMPUTE_PGM_RSRC2:TRAP_HANDLER: 0
; COMPUTE_PGM_RSRC2:TGID_X_EN: 1
; COMPUTE_PGM_RSRC2:TGID_Y_EN: 0
; COMPUTE_PGM_RSRC2:TGID_Z_EN: 0
; COMPUTE_PGM_RSRC2:TIDIG_COMP_CNT: 0
	.type	__hip_cuid_c701a70db7af6729,@object ; @__hip_cuid_c701a70db7af6729
	.section	.bss,"aw",@nobits
	.globl	__hip_cuid_c701a70db7af6729
__hip_cuid_c701a70db7af6729:
	.byte	0                               ; 0x0
	.size	__hip_cuid_c701a70db7af6729, 1

	.ident	"AMD clang version 19.0.0git (https://github.com/RadeonOpenCompute/llvm-project roc-6.4.0 25133 c7fe45cf4b819c5991fe208aaa96edf142730f1d)"
	.section	".note.GNU-stack","",@progbits
	.addrsig
	.addrsig_sym __hip_cuid_c701a70db7af6729
	.amdgpu_metadata
---
amdhsa.kernels:
  - .args:
      - .actual_access:  read_only
        .address_space:  global
        .offset:         0
        .size:           8
        .value_kind:     global_buffer
      - .address_space:  global
        .offset:         8
        .size:           8
        .value_kind:     global_buffer
      - .actual_access:  read_only
        .address_space:  global
        .offset:         16
        .size:           8
        .value_kind:     global_buffer
      - .actual_access:  read_only
        .address_space:  global
        .offset:         24
        .size:           8
        .value_kind:     global_buffer
      - .offset:         32
        .size:           8
        .value_kind:     by_value
      - .actual_access:  read_only
        .address_space:  global
        .offset:         40
        .size:           8
        .value_kind:     global_buffer
      - .actual_access:  read_only
        .address_space:  global
        .offset:         48
        .size:           8
        .value_kind:     global_buffer
      - .offset:         56
        .size:           4
        .value_kind:     by_value
      - .actual_access:  read_only
        .address_space:  global
        .offset:         64
        .size:           8
        .value_kind:     global_buffer
      - .actual_access:  read_only
        .address_space:  global
        .offset:         72
        .size:           8
        .value_kind:     global_buffer
      - .address_space:  global
        .offset:         80
        .size:           8
        .value_kind:     global_buffer
    .group_segment_fixed_size: 0
    .kernarg_segment_align: 8
    .kernarg_segment_size: 88
    .language:       OpenCL C
    .language_version:
      - 2
      - 0
    .max_flat_workgroup_size: 196
    .name:           fft_rtc_fwd_len224_factors_4_7_2_2_2_wgs_196_tpt_14_dim3_sp_ip_CI_sbcc_twdbase8_3step_dirReg
    .private_segment_fixed_size: 0
    .sgpr_count:     30
    .sgpr_spill_count: 0
    .symbol:         fft_rtc_fwd_len224_factors_4_7_2_2_2_wgs_196_tpt_14_dim3_sp_ip_CI_sbcc_twdbase8_3step_dirReg.kd
    .uniform_work_group_size: 1
    .uses_dynamic_stack: false
    .vgpr_count:     88
    .vgpr_spill_count: 0
    .wavefront_size: 64
amdhsa.target:   amdgcn-amd-amdhsa--gfx906
amdhsa.version:
  - 1
  - 2
...

	.end_amdgpu_metadata
